;; amdgpu-corpus repo=ROCm/aiter kind=harvested arch=n/a opt=n/a

/root/src/amdgpu-assembly/repos/ROCm__aiter/hsa/gfx950/mla/mla_a16w16_qh64_qseqlen1_gqaratio64_v3_ps.co:	file format elf64-amdgpu

Disassembly of section .text:

0000000000002300 <_ZN5aiter41mla_a16w16_qh64_qseqlen1_gqaratio64_v3_psE>:
	s_and_b32 s1, s1, 0xffff                                   // 000000002300: 8601FF01 0000FFFF
	s_load_dwordx2 s[28:29], s[0:1], 0xe0                      // 000000002308: C0060700 000000E0
	v_lshrrev_b32_e32 v1, 10, v0                               // 000000002310: 2002008A
	v_lshrrev_b32_e32 v2, 10, v1                               // 000000002314: 2004028A
	v_and_b32_e32 v2, 0x3ff, v2                                // 000000002318: 260404FF 000003FF
	v_and_b32_e32 v1, 0x3ff, v1                                // 000000002320: 260202FF 000003FF
	v_and_b32_e32 v0, 0x3ff, v0                                // 000000002328: 260000FF 000003FF
	v_lshrrev_b32_e32 v3, 6, v0                                // 000000002330: 20060086
	v_and_b32_e32 v0, 63, v0                                   // 000000002334: 260000BF
	s_mov_b32 s2, s2                                           // 000000002338: BE820002
	s_mov_b32 s3, s3                                           // 00000000233C: BE830003
	s_mov_b32 s4, s4                                           // 000000002340: BE840004
	v_readfirstlane_b32 s7, v3                                 // 000000002344: 7E0E0503
	s_waitcnt lgkmcnt(0)                                       // 000000002348: BF8CC07F
	s_and_b32 s29, s29, 0xffff                                 // 00000000234C: 861DFF1D 0000FFFF
	s_load_dwordx2 s[32:33], s[28:29], 0x0                     // 000000002354: C006080E 00000000
	s_load_dwordx2 s[30:31], s[28:29], 0x8                     // 00000000235C: C006078E 00000008
	s_waitcnt lgkmcnt(0)                                       // 000000002364: BF8CC07F
	s_mul_i32 s56, s2, 4                                       // 000000002368: 92388402
	s_and_b32 s33, s33, 0xffff                                 // 00000000236C: 8621FF21 0000FFFF
	s_add_u32 s32, s56, s32                                    // 000000002374: 80202038
	s_addc_u32 s33, 0, s33                                     // 000000002378: 82212180
	s_load_dword s85, s[32:33], 0x0                            // 00000000237C: C0021550 00000000
	s_load_dword s86, s[32:33], 0x4                            // 000000002384: C0021590 00000004
	s_and_b32 s31, s31, 0xffff                                 // 00000000238C: 861FFF1F 0000FFFF
	s_waitcnt lgkmcnt(0)                                       // 000000002394: BF8CC07F
	s_cmp_eq_i32 s85, s86                                      // 000000002398: BF005655
	s_cbranch_scc1 label_C784                                  // 00000000239C: BF853137
	s_mul_i32 s56, s85, 32                                     // 0000000023A0: 9238A055

00000000000023a4 <label_00A4>:
	s_waitcnt vmcnt(0) expcnt(0) lgkmcnt(0)                    // 0000000023A4: BF8C0000
	s_barrier                                                  // 0000000023A8: BF8A0000
	s_add_u32 s30, s56, s30                                    // 0000000023AC: 801E1E38
	s_addc_u32 s31, 0, s31                                     // 0000000023B0: 821F1F80
	s_load_dword s66, s[30:31], 0x0                            // 0000000023B4: C002108F 00000000
	s_load_dword s87, s[30:31], 0x4                            // 0000000023BC: C00215CF 00000004
	s_load_dword s79, s[30:31], 0x8                            // 0000000023C4: C00213CF 00000008
	s_load_dword s78, s[30:31], 0xc                            // 0000000023CC: C002138F 0000000C
	s_load_dword s47, s[30:31], 0x10                           // 0000000023D4: C0020BCF 00000010
	s_load_dword s46, s[30:31], 0x14                           // 0000000023DC: C0020B8F 00000014
	s_load_dword s62, s[30:31], 0x18                           // 0000000023E4: C0020F8F 00000018
	s_load_dwordx2 s[8:9], s[0:1], 0x0                         // 0000000023EC: C0060200 00000000
	s_load_dwordx2 s[12:13], s[0:1], 0x10                      // 0000000023F4: C0060300 00000010
	s_load_dwordx2 s[16:17], s[0:1], 0x20                      // 0000000023FC: C0060400 00000020
	s_load_dwordx2 s[20:21], s[0:1], 0x30                      // 000000002404: C0060500 00000030
	s_load_dwordx2 s[24:25], s[0:1], 0x50                      // 00000000240C: C0060600 00000050
	s_load_dword s64, s[0:1], 0x70                             // 000000002414: C0021000 00000070
	s_load_dword s92, s[0:1], 0x80                             // 00000000241C: C0021700 00000080
	s_load_dword s68, s[0:1], 0xb0                             // 000000002424: C0021100 000000B0
	s_load_dword s69, s[0:1], 0xc0                             // 00000000242C: C0021140 000000C0
	s_load_dwordx2 s[32:33], s[0:1], 0xd0                      // 000000002434: C0060800 000000D0
	s_load_dwordx2 s[88:89], s[0:1], 0xf0                      // 00000000243C: C0061600 000000F0
	s_waitcnt lgkmcnt(0)                                       // 000000002444: BF8CC07F
	s_mul_i32 s56, s66, 4                                      // 000000002448: 92388442
	s_add_u32 s32, s56, s32                                    // 00000000244C: 80202038
	s_addc_u32 s33, 0, s33                                     // 000000002450: 82212180
	s_load_dword s66, s[32:33], 0x4                            // 000000002454: C0021090 00000004
	s_waitcnt lgkmcnt(0)                                       // 00000000245C: BF8CC07F
	s_mov_b32 s67, 1                                           // 000000002460: BEC30081
	s_sub_u32 s81, s78, s79                                    // 000000002464: 80D14F4E
	s_mul_i32 s65, s92, s81                                    // 000000002468: 9241515C
	s_mul_i32 s75, 0x800, s65                                  // 00000000246C: 924B41FF 00000800
	s_mul_i32 s74, 0x480, s65                                  // 000000002474: 924A41FF 00000480
	s_mul_i32 s56, 4, s65                                      // 00000000247C: 92384184
	s_mov_b32 s10, s75                                         // 000000002480: BE8A004B
	s_mov_b32 s18, s74                                         // 000000002484: BE92004A
	s_mov_b32 s14, s56                                         // 000000002488: BE8E0038
	s_mov_b32 s22, -16                                         // 00000000248C: BE9600D0
	s_mov_b32 s26, -16                                         // 000000002490: BE9A00D0
	s_mov_b32 s90, -16                                         // 000000002494: BEDA00D0
	s_mov_b32 s11, 0x20000                                     // 000000002498: BE8B00FF 00020000
	s_mov_b32 s19, 0x20000                                     // 0000000024A0: BE9300FF 00020000
	s_mov_b32 s15, 0x20000                                     // 0000000024A8: BE8F00FF 00020000
	s_mov_b32 s23, 0x20000                                     // 0000000024B0: BE9700FF 00020000
	s_mov_b32 s27, 0x20000                                     // 0000000024B8: BE9B00FF 00020000
	s_mov_b32 s91, 0x20000                                     // 0000000024C0: BEDB00FF 00020000
	s_and_b32 s9, s9, 0xffff                                   // 0000000024C8: 8609FF09 0000FFFF
	s_and_b32 s17, s17, 0xffff                                 // 0000000024D0: 8611FF11 0000FFFF
	s_and_b32 s13, s13, 0xffff                                 // 0000000024D8: 860DFF0D 0000FFFF
	s_and_b32 s21, s21, 0xffff                                 // 0000000024E0: 8615FF15 0000FFFF
	s_and_b32 s25, s25, 0xffff                                 // 0000000024E8: 8619FF19 0000FFFF
	s_and_b32 s89, s89, 0xffff                                 // 0000000024F0: 8659FF59 0000FFFF
	s_or_b32 s9, s9, 0x40000                                   // 0000000024F8: 8709FF09 00040000
	s_or_b32 s17, s17, 0x40000                                 // 000000002500: 8711FF11 00040000
	s_or_b32 s13, s13, 0x40000                                 // 000000002508: 870DFF0D 00040000
	s_or_b32 s21, s21, 0x40000                                 // 000000002510: 8715FF15 00040000
	s_or_b32 s25, s25, 0x40000                                 // 000000002518: 8719FF19 00040000
	s_or_b32 s89, s89, 0x40000                                 // 000000002520: 8759FF59 00040000
	s_waitcnt lgkmcnt(0)                                       // 000000002528: BF8CC07F
	s_mov_b32 s69, 0                                           // 00000000252C: BEC50080
	s_lshr_b32 s44, 32, s69                                    // 000000002530: 8F2C45A0
	s_mul_i32 s73, s44, 4                                      // 000000002534: 9249842C
	s_mul_i32 s73, s73, s67                                    // 000000002538: 92494349
	s_mul_i32 s45, s4, s44                                     // 00000000253C: 922D2C04
	s_sub_u32 s50, s46, s47                                    // 000000002540: 80B22F2E
	s_sub_i32 s82, s50, s66                                    // 000000002544: 81D24232
	s_add_u32 s82, s79, s82                                    // 000000002548: 8052524F
	s_add_u32 s82, s62, s82                                    // 00000000254C: 8052523E
	s_mov_b32 s83, 31                                          // 000000002550: BED3009F
	s_add_u32 s83, s83, s45                                    // 000000002554: 80532D53
	s_mul_i32 s84, s67, 32                                     // 000000002558: 9254A043
	s_cmp_le_u32 s50, s45                                      // 00000000255C: BF0B2D32
	s_cbranch_scc1 label_C784                                  // 000000002560: BF8530C6
	s_mul_i32 s56, s50, 4                                      // 000000002564: 92388432
	s_mov_b32 s26, s56                                         // 000000002568: BE9A0038
	s_mul_i32 s56, s47, 4                                      // 00000000256C: 9238842F
	s_add_u32 s24, s56, s24                                    // 000000002570: 80181838
	s_addc_u32 s25, 0, s25                                     // 000000002574: 82191980
	s_mov_b32 s70, 0                                           // 000000002578: BEC60080
	s_sub_u32 s71, s50, s45                                    // 00000000257C: 80C72D32
	s_mul_i32 s37, s67, s44                                    // 000000002580: 92252C43
	s_mov_b32 s36, s71                                         // 000000002584: BEA40047
	v_cvt_f32_u32_e32 v28, s37                                 // 000000002588: 7E380C25
	s_sub_i32 s56, 0, s37                                      // 00000000258C: 81B82580
	v_rcp_iflag_f32_e32 v28, v28                               // 000000002590: 7E38471C
	s_nop 0                                                    // 000000002594: BF800000
	v_mul_f32_e32 v28, 0x4f7ffffe, v28                         // 000000002598: 0A3838FF 4F7FFFFE
	v_cvt_u32_f32_e32 v28, v28                                 // 0000000025A0: 7E380F1C
	v_mul_lo_u32 v29, s56, v28                                 // 0000000025A4: D285001D 00023838
	v_mul_hi_u32 v29, v28, v29                                 // 0000000025AC: D286001D 00023B1C
	v_add_u32_e32 v28, v28, v29                                // 0000000025B4: 68383B1C
	v_mul_hi_u32 v28, s36, v28                                 // 0000000025B8: D286001C 00023824
	v_mul_lo_u32 v29, v28, s37                                 // 0000000025C0: D285001D 00004B1C
	v_sub_u32_e32 v31, s36, v29                                // 0000000025C8: 6A3E3A24
	v_add_u32_e32 v30, 1, v28                                  // 0000000025CC: 683C3881
	v_cmp_le_u32_e32 vcc, s37, v31                             // 0000000025D0: 7D963E25
	v_subrev_u32_e32 v29, s37, v31                             // 0000000025D4: 6C3A3E25
	s_nop 0                                                    // 0000000025D8: BF800000
	v_cndmask_b32_e32 v28, v28, v30, vcc                       // 0000000025DC: 00383D1C
	v_cndmask_b32_e32 v31, v31, v29, vcc                       // 0000000025E0: 003E3B1F
	v_add_u32_e32 v29, 1, v28                                  // 0000000025E4: 683A3881
	v_cmp_le_u32_e32 vcc, s37, v31                             // 0000000025E8: 7D963E25
	s_nop 1                                                    // 0000000025EC: BF800001
	v_cndmask_b32_e32 v31, v28, v29, vcc                       // 0000000025F0: 003E3B1C
	s_nop 3                                                    // 0000000025F4: BF800003
	v_readfirstlane_b32 s38, v31                               // 0000000025F8: 7E4C051F
	s_nop 3                                                    // 0000000025FC: BF800003
	s_mov_b32 s71, s38                                         // 000000002600: BEC70026
	s_mul_i32 s56, s71, s37                                    // 000000002604: 92382547
	s_sub_u32 s56, s36, s56                                    // 000000002608: 80B83824
	s_mov_b32 s57, 0                                           // 00000000260C: BEB90080
	s_cmp_lt_u32 s56, s44                                      // 000000002610: BF0A2C38
	s_cselect_b32 s57, s57, 1                                  // 000000002614: 85398139
	s_add_u32 s71, s57, s71                                    // 000000002618: 80474739
	s_cmpk_eq_u32 s57, 0x1                                     // 00000000261C: B4390001
	s_cselect_b32 s49, 0, s56                                  // 000000002620: 85313880
	s_mov_b32 s48, s49                                         // 000000002624: BEB00031
	v_lshrrev_b32_e32 v28, 2, v0                               // 000000002628: 20380082
	s_lshr_b32 s57, s7, 1                                      // 00000000262C: 8F398107
	s_mul_i32 s56, 16, s57                                     // 000000002630: 92383990
	v_add_u32_e64 v26, v28, s56                                // 000000002634: D134001A 0000711C
	v_add_u32_e32 v26, s45, v26                                // 00000000263C: 6834342D
	v_lshlrev_b32_e32 v26, 2, v26                              // 000000002640: 24343482
	buffer_load_dword v22, v26, s[24:27], 0 offen              // 000000002644: E0501000 8006161A
	v_add_u32_e32 v26, s73, v26                                // 00000000264C: 68343449
	buffer_load_dword v23, v26, s[24:27], 0 offen              // 000000002650: E0501000 8006171A
	v_add_u32_e32 v26, s73, v26                                // 000000002658: 68343449
	s_mul_i32 s56, 0x480, s92                                  // 00000000265C: 92385CFF 00000480
	s_mul_i32 s56, s79, s56                                    // 000000002664: 9238384F
	s_add_u32 s16, s56, s16                                    // 000000002668: 80101038
	s_addc_u32 s17, 0, s17                                     // 00000000266C: 82111180
	s_mul_i32 s56, 0x480, s92                                  // 000000002670: 92385CFF 00000480
	s_mul_i32 s56, s56, s81                                    // 000000002678: 92385138
	s_mov_b32 s18, s56                                         // 00000000267C: BE920038
	s_mul_i32 s56, s7, 0x400                                   // 000000002680: 9238FF07 00000400
	s_add_u32 m0, 0, s56                                       // 000000002688: 807C3880
	v_and_b32_e32 v28, 3, v0                                   // 00000000268C: 26380083
	v_mov_b32_e32 v29, 0                                       // 000000002690: 7E3A0280
	s_mov_b32 s56, 0                                           // 000000002694: BEB80080
	s_mov_b32 s57, -1                                          // 000000002698: BEB900C1
	v_cndmask_b32_e64 v30, v29, v28, s[56:57]                  // 00000000269C: D100001E 00E2391D
	s_nop 2                                                    // 0000000026A4: BF800002
	v_mov_b32_dpp v30, v30 quad_perm:[2,3,0,1] row_mask:0xf bank_mask:0xf// 0000000026A8: 7E3C02FA FF004E1E
	v_cndmask_b32_e64 v31, v28, v30, s[56:57]                  // 0000000026B0: D100001F 00E23D1C
	v_lshlrev_b32_e32 v31, 4, v31                              // 0000000026B8: 243E3E84
	v_mov_b32_e32 v1, v31                                      // 0000000026BC: 7E02031F
	s_and_b32 s56, 1, s7                                       // 0000000026C0: 86380781
	s_mul_i32 s56, s56, 0x240                                  // 0000000026C4: 9238FF38 00000240
	v_add_u32_e64 v1, v1, s56                                  // 0000000026CC: D1340001 00007101
	v_lshrrev_b32_e32 v28, 2, v0                               // 0000000026D4: 20380082
	s_mov_b32 s56, 0x480                                       // 0000000026D8: BEB800FF 00000480
	v_mul_i32_i24_e64 v28, v28, s56                            // 0000000026E0: D106001C 0000711C
	s_mul_i32 s56, s7, 64                                      // 0000000026E8: 9238C007
	v_add_u32_e32 v29, v28, v31                                // 0000000026EC: 683A3F1C
	v_add_u32_e64 v29, v29, s56                                // 0000000026F0: D134001D 0000711D
	buffer_load_dwordx4 v29, s[16:19], 0 offen lds             // 0000000026F8: E05D1000 8004001D
	s_add_u32 m0, m0, 0x1000                                   // 000000002700: 807CFF7C 00001000
	v_add_u32_e32 v29, 0x100, v29                              // 000000002708: 683A3AFF 00000100
	buffer_load_dwordx4 v29, s[16:19], 0 offen lds             // 000000002710: E05D1000 8004001D
	s_add_u32 m0, m0, 0x1000                                   // 000000002718: 807CFF7C 00001000
	v_add_u32_e32 v29, 0x100, v29                              // 000000002720: 683A3AFF 00000100
	buffer_load_dwordx4 v29, s[16:19], 0 offen lds             // 000000002728: E05D1000 8004001D
	;; [unrolled: 3-line block ×4, first 2 shown]
	s_add_u32 m0, m0, 0x1000                                   // 000000002760: 807CFF7C 00001000
	v_add_u32_e32 v29, 0x100, v29                              // 000000002768: 683A3AFF 00000100
	v_add_u32_e32 v29, 0x4300, v29                             // 000000002770: 683A3AFF 00004300
	buffer_load_dwordx4 v29, s[16:19], 0 offen lds             // 000000002778: E05D1000 8004001D
	s_add_u32 m0, m0, 0x1000                                   // 000000002780: 807CFF7C 00001000
	v_add_u32_e32 v29, 0x100, v29                              // 000000002788: 683A3AFF 00000100
	buffer_load_dwordx4 v29, s[16:19], 0 offen lds             // 000000002790: E05D1000 8004001D
	s_add_u32 m0, m0, 0x1000                                   // 000000002798: 807CFF7C 00001000
	v_add_u32_e32 v29, 0x100, v29                              // 0000000027A0: 683A3AFF 00000100
	buffer_load_dwordx4 v29, s[16:19], 0 offen lds             // 0000000027A8: E05D1000 8004001D
	s_add_u32 m0, m0, 0x1000                                   // 0000000027B0: 807CFF7C 00001000
	v_add_u32_e32 v29, 0x100, v29                              // 0000000027B8: 683A3AFF 00000100
	buffer_load_dwordx4 v29, s[16:19], 0 offen lds             // 0000000027C0: E05D1000 8004001D
	s_add_u32 m0, m0, 0x1000                                   // 0000000027C8: 807CFF7C 00001000
	v_add_u32_e32 v29, 0x100, v29                              // 0000000027D0: 683A3AFF 00000100
	buffer_load_dwordx4 v29, s[16:19], 0 offen lds             // 0000000027D8: E05D1000 8004001D
	s_add_u32 m0, m0, 0x1000                                   // 0000000027E0: 807CFF7C 00001000
	v_add_u32_e32 v29, 0x100, v29                              // 0000000027E8: 683A3AFF 00000100
	v_add_u32_e32 v29, 0x4300, v29                             // 0000000027F0: 683A3AFF 00004300
	buffer_load_dwordx4 v29, s[16:19], 0 offen lds             // 0000000027F8: E05D1000 8004001D
	s_add_u32 m0, m0, 0x1000                                   // 000000002800: 807CFF7C 00001000
	v_add_u32_e32 v29, 0x100, v29                              // 000000002808: 683A3AFF 00000100
	buffer_load_dwordx4 v29, s[16:19], 0 offen lds             // 000000002810: E05D1000 8004001D
	s_add_u32 m0, m0, 0x1000                                   // 000000002818: 807CFF7C 00001000
	v_add_u32_e32 v29, 0x100, v29                              // 000000002820: 683A3AFF 00000100
	buffer_load_dwordx4 v29, s[16:19], 0 offen lds             // 000000002828: E05D1000 8004001D
	s_add_u32 m0, m0, 0x1000                                   // 000000002830: 807CFF7C 00001000
	v_add_u32_e32 v29, 0x100, v29                              // 000000002838: 683A3AFF 00000100
	buffer_load_dwordx4 v29, s[16:19], 0 offen lds             // 000000002840: E05D1000 8004001D
	s_add_u32 m0, m0, 0x1000                                   // 000000002848: 807CFF7C 00001000
	v_add_u32_e32 v29, 0x100, v29                              // 000000002850: 683A3AFF 00000100
	buffer_load_dwordx4 v29, s[16:19], 0 offen lds             // 000000002858: E05D1000 8004001D
	s_add_u32 m0, m0, 0x1000                                   // 000000002860: 807CFF7C 00001000
	v_add_u32_e32 v29, 0x100, v29                              // 000000002868: 683A3AFF 00000100
	v_add_u32_e32 v29, 0x4300, v29                             // 000000002870: 683A3AFF 00004300
	buffer_load_dwordx4 v29, s[16:19], 0 offen lds             // 000000002878: E05D1000 8004001D
	s_add_u32 m0, m0, 0x1000                                   // 000000002880: 807CFF7C 00001000
	v_add_u32_e32 v29, 0x100, v29                              // 000000002888: 683A3AFF 00000100
	buffer_load_dwordx4 v29, s[16:19], 0 offen lds             // 000000002890: E05D1000 8004001D
	s_add_u32 m0, m0, 0x1000                                   // 000000002898: 807CFF7C 00001000
	v_add_u32_e32 v29, 0x100, v29                              // 0000000028A0: 683A3AFF 00000100
	buffer_load_dwordx4 v29, s[16:19], 0 offen lds             // 0000000028A8: E05D1000 8004001D
	s_add_u32 m0, m0, 0x1000                                   // 0000000028B0: 807CFF7C 00001000
	v_add_u32_e32 v29, 0x100, v29                              // 0000000028B8: 683A3AFF 00000100
	buffer_load_dwordx4 v29, s[16:19], 0 offen lds             // 0000000028C0: E05D1000 8004001D
	s_add_u32 m0, m0, 0x1000                                   // 0000000028C8: 807CFF7C 00001000
	v_add_u32_e32 v29, 0x100, v29                              // 0000000028D0: 683A3AFF 00000100
	buffer_load_dwordx4 v29, s[16:19], 0 offen lds             // 0000000028D8: E05D1000 8004001D
	s_add_u32 m0, m0, 0x1000                                   // 0000000028E0: 807CFF7C 00001000
	v_add_u32_e32 v29, 0x100, v29                              // 0000000028E8: 683A3AFF 00000100
	v_add_u32_e32 v29, 0x4300, v29                             // 0000000028F0: 683A3AFF 00004300
	s_mov_b32 s52, 0x7060302                                   // 0000000028F8: BEB400FF 07060302
	s_mov_b32 s53, 0x5040100                                   // 000000002900: BEB500FF 05040100
	s_mul_i32 s51, s7, 4                                       // 000000002908: 92338407
	s_mov_b32 s6, 0x3fb8aa3b                                   // 00000000290C: BE8600FF 3FB8AA3B
	v_mov_b32_e32 v29, s6                                      // 000000002914: 7E3A0206
	v_mov_b32_e32 v28, s64                                     // 000000002918: 7E380240
	v_mul_f32_e32 v28, s6, v28                                 // 00000000291C: 0A383806
	v_rcp_f32_e32 v29, v29                                     // 000000002920: 7E3A451D
	v_mov_b32_e32 v2, 0xff800000                               // 000000002924: 7E0402FF FF800000
	v_mov_b32_e32 v16, 0                                       // 00000000292C: 7E200280
	v_mov_b32_e32 v4, 0                                        // 000000002930: 7E080280
	v_readfirstlane_b32 s5, v28                                // 000000002934: 7E0A051C
	v_readfirstlane_b32 s63, v29                               // 000000002938: 7E7E051D
	s_waitcnt vmcnt(20)                                        // 00000000293C: BF8C4F74
	v_mul_u32_u24_e64 v32, v22, s68                            // 000000002940: D1080020 00008916
	v_add_u32_e32 v32, v32, v1                                 // 000000002948: 68400320
	s_mov_b32 s56, 0x14000                                     // 00000000294C: BEB800FF 00014000
	s_mul_i32 s57, s7, 0x2400                                  // 000000002954: 9239FF07 00002400
	s_add_u32 m0, s56, s57                                     // 00000000295C: 807C3938
	buffer_load_dwordx4 v32, s[20:23], 0 offen lds             // 000000002960: E05D1000 80050020
	s_add_i32 m0, m0, 0x3c0                                    // 000000002968: 817CFF7C 000003C0
	buffer_load_dwordx4 v32, s[20:23], 0 offen offset:64 lds   // 000000002970: E05D1040 80050020
	s_add_i32 m0, m0, 0x3c0                                    // 000000002978: 817CFF7C 000003C0
	buffer_load_dwordx4 v32, s[20:23], 0 offen offset:128 lds  // 000000002980: E05D1080 80050020
	s_add_i32 m0, m0, 0x3c0                                    // 000000002988: 817CFF7C 000003C0
	buffer_load_dwordx4 v32, s[20:23], 0 offen offset:192 lds  // 000000002990: E05D10C0 80050020
	s_add_i32 m0, m0, 0x3c0                                    // 000000002998: 817CFF7C 000003C0
	buffer_load_dwordx4 v32, s[20:23], 0 offen offset:256 lds  // 0000000029A0: E05D1100 80050020
	s_add_i32 m0, m0, 0x3c0                                    // 0000000029A8: 817CFF7C 000003C0
	buffer_load_dwordx4 v32, s[20:23], 0 offen offset:320 lds  // 0000000029B0: E05D1140 80050020
	s_add_i32 m0, m0, 0x3c0                                    // 0000000029B8: 817CFF7C 000003C0
	buffer_load_dwordx4 v32, s[20:23], 0 offen offset:384 lds  // 0000000029C0: E05D1180 80050020
	s_add_i32 m0, m0, 0x3c0                                    // 0000000029C8: 817CFF7C 000003C0
	buffer_load_dwordx4 v32, s[20:23], 0 offen offset:448 lds  // 0000000029D0: E05D11C0 80050020
	s_add_i32 m0, m0, 0x3c0                                    // 0000000029D8: 817CFF7C 000003C0
	buffer_load_dwordx4 v32, s[20:23], 0 offen offset:512 lds  // 0000000029E0: E05D1200 80050020
	s_add_i32 m0, m0, 0x3c0                                    // 0000000029E8: 817CFF7C 000003C0
	buffer_load_dword v24, v26, s[24:27], 0 offen              // 0000000029F0: E0501000 8006181A
	v_add_u32_e32 v26, s73, v26                                // 0000000029F8: 68343449
	v_lshrrev_b32_e32 v28, 4, v0                               // 0000000029FC: 20380084
	v_lshlrev_b32_e32 v28, 2, v28                              // 000000002A00: 24383882
	v_sub_u32_e32 v29, 12, v28                                 // 000000002A04: 6A3A388C
	v_mov_b32_e32 v30, v29                                     // 000000002A08: 7E3C031D
	s_nop 1                                                    // 000000002A0C: BF800001
	v_permlane16_swap_b32_e32 v29, v30                         // 000000002A10: 7E3AB31E
	s_nop 1                                                    // 000000002A14: BF800001
	v_permlane16_swap_b32_e32 v30, v29                         // 000000002A18: 7E3CB31D
	s_mov_b32 s56, 0xff00ff00                                  // 000000002A1C: BEB800FF FF00FF00
	s_mov_b32 s57, 0xff00ff00                                  // 000000002A24: BEB900FF FF00FF00
	v_cndmask_b32_e64 v30, v28, v29, s[56:57]                  // 000000002A2C: D100001E 00E23B1C
	v_and_b32_e32 v28, 15, v0                                  // 000000002A34: 2638008F
	v_lshlrev_b32_e32 v28, 4, v28                              // 000000002A38: 24383884
	v_add_u32_e32 v6, v28, v30                                 // 000000002A3C: 680C3D1C
	v_lshlrev_b32_e32 v6, 2, v6                                // 000000002A40: 240C0C82
	s_mul_i32 s56, s7, 0x5000                                  // 000000002A44: 9238FF07 00005000
	v_add_u32_e32 v6, s56, v6                                  // 000000002A4C: 680C0C38
	s_waitcnt vmcnt(10)                                        // 000000002A50: BF8C0F7A
	s_barrier                                                  // 000000002A54: BF8A0000
	ds_read_b128 a[0:3], v6                                    // 000000002A58: DBFE0000 00000006
	ds_read_b128 a[4:7], v6 offset:1024                        // 000000002A60: DBFE0400 04000006
	ds_read_b128 a[8:11], v6 offset:2048                       // 000000002A68: DBFE0800 08000006
	ds_read_b128 a[12:15], v6 offset:3072                      // 000000002A70: DBFE0C00 0C000006
	ds_read_b128 a[16:19], v6 offset:4096                      // 000000002A78: DBFE1000 10000006
	ds_read_b128 a[20:23], v6 offset:5120                      // 000000002A80: DBFE1400 14000006
	ds_read_b128 a[24:27], v6 offset:6144                      // 000000002A88: DBFE1800 18000006
	ds_read_b128 a[28:31], v6 offset:7168                      // 000000002A90: DBFE1C00 1C000006
	ds_read_b128 a[32:35], v6 offset:8192                      // 000000002A98: DBFE2000 20000006
	ds_read_b128 a[36:39], v6 offset:9216                      // 000000002AA0: DBFE2400 24000006
	ds_read_b128 a[40:43], v6 offset:10240                     // 000000002AA8: DBFE2800 28000006
	ds_read_b128 a[44:47], v6 offset:11264                     // 000000002AB0: DBFE2C00 2C000006
	ds_read_b128 a[48:51], v6 offset:12288                     // 000000002AB8: DBFE3000 30000006
	ds_read_b128 a[52:55], v6 offset:13312                     // 000000002AC0: DBFE3400 34000006
	ds_read_b128 a[56:59], v6 offset:14336                     // 000000002AC8: DBFE3800 38000006
	ds_read_b128 a[60:63], v6 offset:15360                     // 000000002AD0: DBFE3C00 3C000006
	ds_read_b128 a[64:67], v6 offset:16384                     // 000000002AD8: DBFE4000 40000006
	ds_read_b128 a[68:71], v6 offset:17408                     // 000000002AE0: DBFE4400 44000006
	v_mov_b32_e32 v50, 0                                       // 000000002AE8: 7E640280
	v_mov_b32_e32 v51, 0                                       // 000000002AEC: 7E660280
	v_mov_b32_e32 v52, 0                                       // 000000002AF0: 7E680280
	v_mov_b32_e32 v53, 0                                       // 000000002AF4: 7E6A0280
	v_mov_b32_e32 v54, 0                                       // 000000002AF8: 7E6C0280
	v_mov_b32_e32 v55, 0                                       // 000000002AFC: 7E6E0280
	v_mov_b32_e32 v56, 0                                       // 000000002B00: 7E700280
	v_mov_b32_e32 v57, 0                                       // 000000002B04: 7E720280
	v_mov_b32_e32 v58, 0                                       // 000000002B08: 7E740280
	v_mov_b32_e32 v59, 0                                       // 000000002B0C: 7E760280
	v_mov_b32_e32 v60, 0                                       // 000000002B10: 7E780280
	v_mov_b32_e32 v61, 0                                       // 000000002B14: 7E7A0280
	v_mov_b32_e32 v62, 0                                       // 000000002B18: 7E7C0280
	v_mov_b32_e32 v63, 0                                       // 000000002B1C: 7E7E0280
	v_mov_b32_e32 v64, 0                                       // 000000002B20: 7E800280
	v_mov_b32_e32 v65, 0                                       // 000000002B24: 7E820280
	v_mov_b32_e32 v66, 0                                       // 000000002B28: 7E840280
	v_mov_b32_e32 v67, 0                                       // 000000002B2C: 7E860280
	v_mov_b32_e32 v68, 0                                       // 000000002B30: 7E880280
	v_mov_b32_e32 v69, 0                                       // 000000002B34: 7E8A0280
	v_mov_b32_e32 v70, 0                                       // 000000002B38: 7E8C0280
	v_mov_b32_e32 v71, 0                                       // 000000002B3C: 7E8E0280
	v_mov_b32_e32 v72, 0                                       // 000000002B40: 7E900280
	v_mov_b32_e32 v73, 0                                       // 000000002B44: 7E920280
	v_mov_b32_e32 v74, 0                                       // 000000002B48: 7E940280
	v_mov_b32_e32 v75, 0                                       // 000000002B4C: 7E960280
	v_mov_b32_e32 v76, 0                                       // 000000002B50: 7E980280
	v_mov_b32_e32 v77, 0                                       // 000000002B54: 7E9A0280
	v_mov_b32_e32 v78, 0                                       // 000000002B58: 7E9C0280
	v_mov_b32_e32 v79, 0                                       // 000000002B5C: 7E9E0280
	v_mov_b32_e32 v80, 0                                       // 000000002B60: 7EA00280
	v_mov_b32_e32 v81, 0                                       // 000000002B64: 7EA20280
	v_mov_b32_e32 v82, 0                                       // 000000002B68: 7EA40280
	v_mov_b32_e32 v83, 0                                       // 000000002B6C: 7EA60280
	v_mov_b32_e32 v84, 0                                       // 000000002B70: 7EA80280
	v_mov_b32_e32 v85, 0                                       // 000000002B74: 7EAA0280
	v_mov_b32_e32 v86, 0                                       // 000000002B78: 7EAC0280
	v_mov_b32_e32 v87, 0                                       // 000000002B7C: 7EAE0280
	v_mov_b32_e32 v88, 0                                       // 000000002B80: 7EB00280
	v_mov_b32_e32 v89, 0                                       // 000000002B84: 7EB20280
	v_mov_b32_e32 v90, 0                                       // 000000002B88: 7EB40280
	v_mov_b32_e32 v91, 0                                       // 000000002B8C: 7EB60280
	v_mov_b32_e32 v92, 0                                       // 000000002B90: 7EB80280
	v_mov_b32_e32 v93, 0                                       // 000000002B94: 7EBA0280
	v_mov_b32_e32 v94, 0                                       // 000000002B98: 7EBC0280
	v_mov_b32_e32 v95, 0                                       // 000000002B9C: 7EBE0280
	v_mov_b32_e32 v96, 0                                       // 000000002BA0: 7EC00280
	v_mov_b32_e32 v97, 0                                       // 000000002BA4: 7EC20280
	v_mov_b32_e32 v98, 0                                       // 000000002BA8: 7EC40280
	v_mov_b32_e32 v99, 0                                       // 000000002BAC: 7EC60280
	v_mov_b32_e32 v100, 0                                      // 000000002BB0: 7EC80280
	v_mov_b32_e32 v101, 0                                      // 000000002BB4: 7ECA0280
	v_mov_b32_e32 v102, 0                                      // 000000002BB8: 7ECC0280
	v_mov_b32_e32 v103, 0                                      // 000000002BBC: 7ECE0280
	v_mov_b32_e32 v104, 0                                      // 000000002BC0: 7ED00280
	v_mov_b32_e32 v105, 0                                      // 000000002BC4: 7ED20280
	v_mov_b32_e32 v106, 0                                      // 000000002BC8: 7ED40280
	v_mov_b32_e32 v107, 0                                      // 000000002BCC: 7ED60280
	v_mov_b32_e32 v108, 0                                      // 000000002BD0: 7ED80280
	v_mov_b32_e32 v109, 0                                      // 000000002BD4: 7EDA0280
	v_mov_b32_e32 v110, 0                                      // 000000002BD8: 7EDC0280
	v_mov_b32_e32 v111, 0                                      // 000000002BDC: 7EDE0280
	v_mov_b32_e32 v112, 0                                      // 000000002BE0: 7EE00280
	v_mov_b32_e32 v113, 0                                      // 000000002BE4: 7EE20280
	v_mov_b32_e32 v114, 0                                      // 000000002BE8: 7EE40280
	v_mov_b32_e32 v115, 0                                      // 000000002BEC: 7EE60280
	v_mov_b32_e32 v116, 0                                      // 000000002BF0: 7EE80280
	v_mov_b32_e32 v117, 0                                      // 000000002BF4: 7EEA0280
	v_mov_b32_e32 v118, 0                                      // 000000002BF8: 7EEC0280
	v_mov_b32_e32 v119, 0                                      // 000000002BFC: 7EEE0280
	v_mov_b32_e32 v120, 0                                      // 000000002C00: 7EF00280
	v_mov_b32_e32 v121, 0                                      // 000000002C04: 7EF20280
	v_mov_b32_e32 v122, 0                                      // 000000002C08: 7EF40280
	v_mov_b32_e32 v123, 0                                      // 000000002C0C: 7EF60280
	v_mov_b32_e32 v124, 0                                      // 000000002C10: 7EF80280
	v_mov_b32_e32 v125, 0                                      // 000000002C14: 7EFA0280
	v_mov_b32_e32 v126, 0                                      // 000000002C18: 7EFC0280
	v_mov_b32_e32 v127, 0                                      // 000000002C1C: 7EFE0280
	v_mov_b32_e32 v128, 0                                      // 000000002C20: 7F000280
	v_mov_b32_e32 v129, 0                                      // 000000002C24: 7F020280
	v_mov_b32_e32 v130, 0                                      // 000000002C28: 7F040280
	v_mov_b32_e32 v131, 0                                      // 000000002C2C: 7F060280
	v_mov_b32_e32 v132, 0                                      // 000000002C30: 7F080280
	v_mov_b32_e32 v133, 0                                      // 000000002C34: 7F0A0280
	v_mov_b32_e32 v134, 0                                      // 000000002C38: 7F0C0280
	v_mov_b32_e32 v135, 0                                      // 000000002C3C: 7F0E0280
	v_mov_b32_e32 v136, 0                                      // 000000002C40: 7F100280
	v_mov_b32_e32 v137, 0                                      // 000000002C44: 7F120280
	v_mov_b32_e32 v138, 0                                      // 000000002C48: 7F140280
	v_mov_b32_e32 v139, 0                                      // 000000002C4C: 7F160280
	v_mov_b32_e32 v140, 0                                      // 000000002C50: 7F180280
	v_mov_b32_e32 v141, 0                                      // 000000002C54: 7F1A0280
	v_mov_b32_e32 v142, 0                                      // 000000002C58: 7F1C0280
	v_mov_b32_e32 v143, 0                                      // 000000002C5C: 7F1E0280
	v_mov_b32_e32 v144, 0                                      // 000000002C60: 7F200280
	v_mov_b32_e32 v145, 0                                      // 000000002C64: 7F220280
	v_mov_b32_e32 v146, 0                                      // 000000002C68: 7F240280
	v_mov_b32_e32 v147, 0                                      // 000000002C6C: 7F260280
	v_mov_b32_e32 v148, 0                                      // 000000002C70: 7F280280
	v_mov_b32_e32 v149, 0                                      // 000000002C74: 7F2A0280
	v_mov_b32_e32 v150, 0                                      // 000000002C78: 7F2C0280
	v_mov_b32_e32 v151, 0                                      // 000000002C7C: 7F2E0280
	v_mov_b32_e32 v152, 0                                      // 000000002C80: 7F300280
	v_mov_b32_e32 v153, 0                                      // 000000002C84: 7F320280
	v_mov_b32_e32 v154, 0                                      // 000000002C88: 7F340280
	v_mov_b32_e32 v155, 0                                      // 000000002C8C: 7F360280
	v_mov_b32_e32 v156, 0                                      // 000000002C90: 7F380280
	v_mov_b32_e32 v157, 0                                      // 000000002C94: 7F3A0280
	v_mov_b32_e32 v158, 0                                      // 000000002C98: 7F3C0280
	v_mov_b32_e32 v159, 0                                      // 000000002C9C: 7F3E0280
	v_mov_b32_e32 v160, 0                                      // 000000002CA0: 7F400280
	v_mov_b32_e32 v161, 0                                      // 000000002CA4: 7F420280
	v_mov_b32_e32 v162, 0                                      // 000000002CA8: 7F440280
	v_mov_b32_e32 v163, 0                                      // 000000002CAC: 7F460280
	v_mov_b32_e32 v164, 0                                      // 000000002CB0: 7F480280
	v_mov_b32_e32 v165, 0                                      // 000000002CB4: 7F4A0280
	v_mov_b32_e32 v166, 0                                      // 000000002CB8: 7F4C0280
	v_mov_b32_e32 v167, 0                                      // 000000002CBC: 7F4E0280
	v_mov_b32_e32 v168, 0                                      // 000000002CC0: 7F500280
	v_mov_b32_e32 v169, 0                                      // 000000002CC4: 7F520280
	v_mov_b32_e32 v170, 0                                      // 000000002CC8: 7F540280
	v_mov_b32_e32 v171, 0                                      // 000000002CCC: 7F560280
	v_mov_b32_e32 v172, 0                                      // 000000002CD0: 7F580280
	v_mov_b32_e32 v173, 0                                      // 000000002CD4: 7F5A0280
	v_mov_b32_e32 v174, 0                                      // 000000002CD8: 7F5C0280
	v_mov_b32_e32 v175, 0                                      // 000000002CDC: 7F5E0280
	v_mov_b32_e32 v176, 0                                      // 000000002CE0: 7F600280
	v_mov_b32_e32 v177, 0                                      // 000000002CE4: 7F620280
	v_lshrrev_b32_e32 v28, 4, v0                               // 000000002CE8: 20380084
	v_lshlrev_b32_e32 v28, 2, v28                              // 000000002CEC: 24383882
	v_sub_u32_e32 v29, 12, v28                                 // 000000002CF0: 6A3A388C
	v_mov_b32_e32 v30, v29                                     // 000000002CF4: 7E3C031D
	s_nop 1                                                    // 000000002CF8: BF800001
	v_permlane16_swap_b32_e32 v29, v30                         // 000000002CFC: 7E3AB31E
	s_nop 1                                                    // 000000002D00: BF800001
	v_permlane16_swap_b32_e32 v30, v29                         // 000000002D04: 7E3CB31D
	s_mov_b32 s56, 0xff00ff00                                  // 000000002D08: BEB800FF FF00FF00
	s_mov_b32 s57, 0xff00ff00                                  // 000000002D10: BEB900FF FF00FF00
	v_cndmask_b32_e64 v30, v28, v29, s[56:57]                  // 000000002D18: D100001E 00E23B1C
	v_and_b32_e32 v28, 15, v0                                  // 000000002D20: 2638008F
	v_lshlrev_b32_e32 v28, 4, v28                              // 000000002D24: 24383884
	v_add_u32_e32 v18, v28, v30                                // 000000002D28: 68243D1C
	v_lshlrev_b32_e32 v19, 2, v18                              // 000000002D2C: 24262482
	s_mov_b32 s56, 0x2000                                      // 000000002D30: BEB800FF 00002000
	v_add_u32_e32 v18, s56, v19                                // 000000002D38: 68242638
	s_mov_b32 s57, 0x9000                                      // 000000002D3C: BEB900FF 00009000
	v_add_u32_e32 v19, s57, v18                                // 000000002D44: 68262439
	v_add_u32_e32 v20, s57, v19                                // 000000002D48: 68282639
	v_add_u32_e32 v21, s57, v20                                // 000000002D4C: 682A2839
	v_and_b32_e32 v28, 15, v0                                  // 000000002D50: 2638008F
	v_lshrrev_b32_e32 v29, 2, v28                              // 000000002D54: 203A3882
	v_and_b32_e32 v30, 16, v0                                  // 000000002D58: 263C0090
	v_lshrrev_b32_e32 v30, 1, v30                              // 000000002D5C: 203C3C81
	v_add_u32_e32 v31, v30, v29                                // 000000002D60: 683E3B1E
	v_lshlrev_b32_e32 v31, 4, v31                              // 000000002D64: 243E3E84
	v_and_b32_e32 v29, 3, v0                                   // 000000002D68: 263A0083
	v_lshlrev_b32_e32 v30, 1, v29                              // 000000002D6C: 243C3A81
	v_add_u32_e32 v31, v31, v30                                // 000000002D70: 683E3D1F
	v_mov_b32_e32 v28, 0                                       // 000000002D74: 7E380280
	v_mov_b32_e32 v29, 8                                       // 000000002D78: 7E3A0288
	s_mov_b32 s57, 0xffff0000                                  // 000000002D7C: BEB900FF FFFF0000
	s_mov_b32 s56, 0xffff0000                                  // 000000002D84: BEB800FF FFFF0000
	v_cndmask_b32_e64 v50, v28, v29, s[56:57]                  // 000000002D8C: D1000032 00E23B1C
	v_cndmask_b32_e64 v51, v29, v28, s[56:57]                  // 000000002D94: D1000033 00E2391D
	v_add_u32_e32 v8, v31, v50                                 // 000000002D9C: 6810651F
	v_add_u32_e32 v9, v31, v51                                 // 000000002DA0: 6812671F
	v_lshrrev_b32_e32 v28, 5, v0                               // 000000002DA4: 20380085
	s_mov_b32 s57, 0x1200                                      // 000000002DA8: BEB900FF 00001200
	v_mul_i32_i24_e32 v28, s57, v28                            // 000000002DB0: 0C383839
	v_add_u32_e32 v8, v8, v28                                  // 000000002DB4: 68103908
	v_add_u32_e32 v9, v9, v28                                  // 000000002DB8: 68123909
	v_lshlrev_b32_e32 v8, 2, v8                                // 000000002DBC: 24101082
	v_lshlrev_b32_e32 v9, 2, v9                                // 000000002DC0: 24121282
	s_mov_b32 s56, 0x2000                                      // 000000002DC4: BEB800FF 00002000
	v_add_u32_e32 v8, s56, v8                                  // 000000002DCC: 68101038
	v_add_u32_e32 v9, s56, v9                                  // 000000002DD0: 68121238
	s_mov_b32 s56, 0x9000                                      // 000000002DD4: BEB800FF 00009000
	v_add_u32_e32 v10, s56, v8                                 // 000000002DDC: 68141038
	v_add_u32_e32 v11, s56, v9                                 // 000000002DE0: 68161238
	v_add_u32_e32 v12, s56, v10                                // 000000002DE4: 68181438
	v_add_u32_e32 v13, s56, v11                                // 000000002DE8: 681A1638
	v_add_u32_e32 v14, s56, v12                                // 000000002DEC: 681C1838
	v_add_u32_e32 v15, s56, v13                                // 000000002DF0: 681E1A38
	v_mul_u32_u24_e64 v32, v23, s68                            // 000000002DF4: D1080020 00008917
	v_add_u32_e32 v32, v32, v1                                 // 000000002DFC: 68400320
	s_mov_b32 s56, 0x1d000                                     // 000000002E00: BEB800FF 0001D000
	s_mul_i32 s57, s7, 0x2400                                  // 000000002E08: 9239FF07 00002400
	s_add_u32 m0, s56, s57                                     // 000000002E10: 807C3938
	buffer_load_dwordx4 v32, s[20:23], 0 offen lds             // 000000002E14: E05D1000 80050020
	s_add_i32 m0, m0, 0x3c0                                    // 000000002E1C: 817CFF7C 000003C0
	buffer_load_dwordx4 v32, s[20:23], 0 offen offset:64 lds   // 000000002E24: E05D1040 80050020
	s_add_i32 m0, m0, 0x3c0                                    // 000000002E2C: 817CFF7C 000003C0
	buffer_load_dwordx4 v32, s[20:23], 0 offen offset:128 lds  // 000000002E34: E05D1080 80050020
	s_add_i32 m0, m0, 0x3c0                                    // 000000002E3C: 817CFF7C 000003C0
	buffer_load_dwordx4 v32, s[20:23], 0 offen offset:192 lds  // 000000002E44: E05D10C0 80050020
	s_add_i32 m0, m0, 0x3c0                                    // 000000002E4C: 817CFF7C 000003C0
	buffer_load_dwordx4 v32, s[20:23], 0 offen offset:256 lds  // 000000002E54: E05D1100 80050020
	s_add_i32 m0, m0, 0x3c0                                    // 000000002E5C: 817CFF7C 000003C0
	buffer_load_dwordx4 v32, s[20:23], 0 offen offset:320 lds  // 000000002E64: E05D1140 80050020
	s_add_i32 m0, m0, 0x3c0                                    // 000000002E6C: 817CFF7C 000003C0
	buffer_load_dwordx4 v32, s[20:23], 0 offen offset:384 lds  // 000000002E74: E05D1180 80050020
	s_add_i32 m0, m0, 0x3c0                                    // 000000002E7C: 817CFF7C 000003C0
	buffer_load_dwordx4 v32, s[20:23], 0 offen offset:448 lds  // 000000002E84: E05D11C0 80050020
	s_add_i32 m0, m0, 0x3c0                                    // 000000002E8C: 817CFF7C 000003C0
	buffer_load_dwordx4 v32, s[20:23], 0 offen offset:512 lds  // 000000002E94: E05D1200 80050020
	s_add_i32 m0, m0, 0x3c0                                    // 000000002E9C: 817CFF7C 000003C0
	buffer_load_dword v25, v26, s[24:27], 0 offen              // 000000002EA4: E0501000 8006191A
	v_add_u32_e32 v26, s73, v26                                // 000000002EAC: 68343449
	s_waitcnt vmcnt(10)                                        // 000000002EB0: BF8C0F7A
	s_barrier                                                  // 000000002EB4: BF8A0000
	s_waitcnt lgkmcnt(0)                                       // 000000002EB8: BF8CC07F
	ds_read_b128 a[72:75], v20                                 // 000000002EBC: DBFE0000 48000014
	ds_read_b128 a[76:79], v20 offset:1024                     // 000000002EC4: DBFE0400 4C000014
	ds_read_b128 a[80:83], v20 offset:2048                     // 000000002ECC: DBFE0800 50000014
	ds_read_b128 a[84:87], v20 offset:3072                     // 000000002ED4: DBFE0C00 54000014
	ds_read_b128 a[88:91], v20 offset:4096                     // 000000002EDC: DBFE1000 58000014
	ds_read_b128 a[92:95], v20 offset:5120                     // 000000002EE4: DBFE1400 5C000014
	ds_read_b128 a[96:99], v20 offset:6144                     // 000000002EEC: DBFE1800 60000014
	ds_read_b128 a[100:103], v20 offset:7168                   // 000000002EF4: DBFE1C00 64000014
	ds_read_b128 a[104:107], v20 offset:8192                   // 000000002EFC: DBFE2000 68000014
	ds_read_b128 a[108:111], v20 offset:9216                   // 000000002F04: DBFE2400 6C000014
	ds_read_b128 a[112:115], v20 offset:10240                  // 000000002F0C: DBFE2800 70000014
	ds_read_b128 a[116:119], v20 offset:11264                  // 000000002F14: DBFE2C00 74000014
	ds_read_b128 a[120:123], v20 offset:12288                  // 000000002F1C: DBFE3000 78000014
	ds_read_b128 a[124:127], v20 offset:13312                  // 000000002F24: DBFE3400 7C000014
	ds_read_b128 a[128:131], v20 offset:14336                  // 000000002F2C: DBFE3800 80000014
	ds_read_b128 a[132:135], v20 offset:15360                  // 000000002F34: DBFE3C00 84000014
	ds_read_b128 a[136:139], v20 offset:16384                  // 000000002F3C: DBFE4000 88000014
	ds_read_b128 a[140:143], v20 offset:17408                  // 000000002F44: DBFE4400 8C000014
	s_cmp_lt_u32 s71, 1                                        // 000000002F4C: BF0A8147
	s_cbranch_scc1 label_8C9C                                  // 000000002F50: BF852012
	s_waitcnt lgkmcnt(4)                                       // 000000002F54: BF8CC47F
	v_mfma_f32_16x16x32_bf16 v[34:37], a[72:75], a[0:3], 0     // 000000002F58: D3B50022 1A020148
	v_mul_u32_u24_e64 v32, v24, s68                            // 000000002F60: D1080020 00008918
	v_add_u32_e32 v32, v32, v1                                 // 000000002F68: 68400320
	buffer_load_dword v22, v26, s[24:27], 0 offen              // 000000002F6C: E0501000 8006161A
	v_mfma_f32_16x16x32_bf16 v[34:37], a[76:79], a[4:7], v[34:37]// 000000002F74: D3B50022 1C8A094C
	s_mov_b32 s56, 0x2000                                      // 000000002F7C: BEB800FF 00002000
	s_mul_i32 s57, s7, 0x2400                                  // 000000002F84: 9239FF07 00002400
	s_add_u32 m0, s56, s57                                     // 000000002F8C: 807C3938
	buffer_load_dwordx4 v32, s[20:23], 0 offen lds             // 000000002F90: E05D1000 80050020
	s_add_i32 m0, m0, 0x3c0                                    // 000000002F98: 817CFF7C 000003C0
	v_mfma_f32_16x16x32_bf16 v[34:37], a[80:83], a[8:11], v[34:37]// 000000002FA0: D3B50022 1C8A1150
	buffer_load_dwordx4 v32, s[20:23], 0 offen offset:64 lds   // 000000002FA8: E05D1040 80050020
	s_add_i32 m0, m0, 0x3c0                                    // 000000002FB0: 817CFF7C 000003C0
	v_mfma_f32_16x16x32_bf16 v[34:37], a[84:87], a[12:15], v[34:37]// 000000002FB8: D3B50022 1C8A1954
	buffer_load_dwordx4 v32, s[20:23], 0 offen offset:128 lds  // 000000002FC0: E05D1080 80050020
	s_add_i32 m0, m0, 0x3c0                                    // 000000002FC8: 817CFF7C 000003C0
	v_mfma_f32_16x16x32_bf16 v[34:37], a[88:91], a[16:19], v[34:37]// 000000002FD0: D3B50022 1C8A2158
	buffer_load_dwordx4 v32, s[20:23], 0 offen offset:192 lds  // 000000002FD8: E05D10C0 80050020
	s_add_i32 m0, m0, 0x3c0                                    // 000000002FE0: 817CFF7C 000003C0
	v_mfma_f32_16x16x32_bf16 v[34:37], a[92:95], a[20:23], v[34:37]// 000000002FE8: D3B50022 1C8A295C
	buffer_load_dwordx4 v32, s[20:23], 0 offen offset:256 lds  // 000000002FF0: E05D1100 80050020
	s_add_i32 m0, m0, 0x3c0                                    // 000000002FF8: 817CFF7C 000003C0
	v_mfma_f32_16x16x32_bf16 v[34:37], a[96:99], a[24:27], v[34:37]// 000000003000: D3B50022 1C8A3160
	buffer_load_dwordx4 v32, s[20:23], 0 offen offset:320 lds  // 000000003008: E05D1140 80050020
	s_add_i32 m0, m0, 0x3c0                                    // 000000003010: 817CFF7C 000003C0
	v_mfma_f32_16x16x32_bf16 v[34:37], a[100:103], a[28:31], v[34:37]// 000000003018: D3B50022 1C8A3964
	buffer_load_dwordx4 v32, s[20:23], 0 offen offset:384 lds  // 000000003020: E05D1180 80050020
	s_add_i32 m0, m0, 0x3c0                                    // 000000003028: 817CFF7C 000003C0
	v_mfma_f32_16x16x32_bf16 v[34:37], a[104:107], a[32:35], v[34:37]// 000000003030: D3B50022 1C8A4168
	buffer_load_dwordx4 v32, s[20:23], 0 offen offset:448 lds  // 000000003038: E05D11C0 80050020
	s_add_i32 m0, m0, 0x3c0                                    // 000000003040: 817CFF7C 000003C0
	v_mfma_f32_16x16x32_bf16 v[34:37], a[108:111], a[36:39], v[34:37]// 000000003048: D3B50022 1C8A496C
	buffer_load_dwordx4 v32, s[20:23], 0 offen offset:512 lds  // 000000003050: E05D1200 80050020
	s_add_i32 m0, m0, 0x3c0                                    // 000000003058: 817CFF7C 000003C0
	v_mfma_f32_16x16x32_bf16 v[34:37], a[112:115], a[40:43], v[34:37]// 000000003060: D3B50022 1C8A5170
	ds_read_b128 a[72:75], v20 offset:18432                    // 000000003068: DBFE4800 48000014
	ds_read_b128 a[76:79], v20 offset:19456                    // 000000003070: DBFE4C00 4C000014
	v_mfma_f32_16x16x32_bf16 v[34:37], a[116:119], a[44:47], v[34:37]// 000000003078: D3B50022 1C8A5974
	ds_read_b128 a[80:83], v20 offset:20480                    // 000000003080: DBFE5000 50000014
	ds_read_b128 a[84:87], v20 offset:21504                    // 000000003088: DBFE5400 54000014
	v_mfma_f32_16x16x32_bf16 v[34:37], a[120:123], a[48:51], v[34:37]// 000000003090: D3B50022 1C8A6178
	ds_read_b128 a[88:91], v20 offset:22528                    // 000000003098: DBFE5800 58000014
	ds_read_b128 a[92:95], v20 offset:23552                    // 0000000030A0: DBFE5C00 5C000014
	v_mfma_f32_16x16x32_bf16 v[34:37], a[124:127], a[52:55], v[34:37]// 0000000030A8: D3B50022 1C8A697C
	ds_read_b128 a[96:99], v20 offset:24576                    // 0000000030B0: DBFE6000 60000014
	ds_read_b128 a[100:103], v20 offset:25600                  // 0000000030B8: DBFE6400 64000014
	v_mfma_f32_16x16x32_bf16 v[34:37], a[128:131], a[56:59], v[34:37]// 0000000030C0: D3B50022 1C8A7180
	ds_read_b128 a[104:107], v20 offset:26624                  // 0000000030C8: DBFE6800 68000014
	ds_read_b128 a[108:111], v20 offset:27648                  // 0000000030D0: DBFE6C00 6C000014
	v_mfma_f32_16x16x32_bf16 v[34:37], a[132:135], a[60:63], v[34:37]// 0000000030D8: D3B50022 1C8A7984
	ds_read_b128 a[112:115], v20 offset:28672                  // 0000000030E0: DBFE7000 70000014
	ds_read_b128 a[116:119], v20 offset:29696                  // 0000000030E8: DBFE7400 74000014
	v_mfma_f32_16x16x32_bf16 v[34:37], a[136:139], a[64:67], v[34:37]// 0000000030F0: D3B50022 1C8A8188
	ds_read_b128 a[120:123], v20 offset:30720                  // 0000000030F8: DBFE7800 78000014
	ds_read_b128 a[124:127], v20 offset:31744                  // 000000003100: DBFE7C00 7C000014
	v_mfma_f32_16x16x32_bf16 v[34:37], a[140:143], a[68:71], v[34:37]// 000000003108: D3B50022 1C8A898C
	ds_read_b128 a[128:131], v20 offset:32768                  // 000000003110: DBFE8000 80000014
	ds_read_b128 a[132:135], v20 offset:33792                  // 000000003118: DBFE8400 84000014
	ds_read_b128 a[136:139], v20 offset:34816                  // 000000003120: DBFE8800 88000014
	ds_read_b128 a[140:143], v20 offset:35840                  // 000000003128: DBFE8C00 8C000014
	v_add_u32_e32 v26, s73, v26                                // 000000003130: 68343449
	s_waitcnt lgkmcnt(4)                                       // 000000003134: BF8CC47F
	v_mfma_f32_16x16x32_bf16 v[38:41], a[72:75], a[0:3], 0     // 000000003138: D3B50026 1A020148
	v_mfma_f32_16x16x32_bf16 v[38:41], a[76:79], a[4:7], v[38:41]// 000000003140: D3B50026 1C9A094C
	v_mfma_f32_16x16x32_bf16 v[38:41], a[80:83], a[8:11], v[38:41]// 000000003148: D3B50026 1C9A1150
	v_mfma_f32_16x16x32_bf16 v[38:41], a[84:87], a[12:15], v[38:41]// 000000003150: D3B50026 1C9A1954
	v_mfma_f32_16x16x32_bf16 v[38:41], a[88:91], a[16:19], v[38:41]// 000000003158: D3B50026 1C9A2158
	v_mfma_f32_16x16x32_bf16 v[38:41], a[92:95], a[20:23], v[38:41]// 000000003160: D3B50026 1C9A295C
	s_waitcnt vmcnt(10)                                        // 000000003168: BF8C0F7A
	s_barrier                                                  // 00000000316C: BF8A0000
	v_mfma_f32_16x16x32_bf16 v[38:41], a[96:99], a[24:27], v[38:41]// 000000003170: D3B50026 1C9A3160
	v_mfma_f32_16x16x32_bf16 v[38:41], a[100:103], a[28:31], v[38:41]// 000000003178: D3B50026 1C9A3964
	ds_read_b128 a[72:75], v21                                 // 000000003180: DBFE0000 48000015
	v_mfma_f32_16x16x32_bf16 v[38:41], a[104:107], a[32:35], v[38:41]// 000000003188: D3B50026 1C9A4168
	v_mfma_f32_16x16x32_bf16 v[38:41], a[108:111], a[36:39], v[38:41]// 000000003190: D3B50026 1C9A496C
	ds_read_b128 a[76:79], v21 offset:1024                     // 000000003198: DBFE0400 4C000015
	v_mfma_f32_16x16x32_bf16 v[38:41], a[112:115], a[40:43], v[38:41]// 0000000031A0: D3B50026 1C9A5170
	v_mfma_f32_16x16x32_bf16 v[38:41], a[116:119], a[44:47], v[38:41]// 0000000031A8: D3B50026 1C9A5974
	ds_read_b128 a[80:83], v21 offset:2048                     // 0000000031B0: DBFE0800 50000015
	v_mfma_f32_16x16x32_bf16 v[38:41], a[120:123], a[48:51], v[38:41]// 0000000031B8: D3B50026 1C9A6178
	v_mfma_f32_16x16x32_bf16 v[38:41], a[124:127], a[52:55], v[38:41]// 0000000031C0: D3B50026 1C9A697C
	ds_read_b128 a[84:87], v21 offset:3072                     // 0000000031C8: DBFE0C00 54000015
	v_mfma_f32_16x16x32_bf16 v[38:41], a[128:131], a[56:59], v[38:41]// 0000000031D0: D3B50026 1C9A7180
	v_mfma_f32_16x16x32_bf16 v[38:41], a[132:135], a[60:63], v[38:41]// 0000000031D8: D3B50026 1C9A7984
	ds_read_b128 a[88:91], v21 offset:4096                     // 0000000031E0: DBFE1000 58000015
	v_mfma_f32_16x16x32_bf16 v[38:41], a[136:139], a[64:67], v[38:41]// 0000000031E8: D3B50026 1C9A8188
	v_mfma_f32_16x16x32_bf16 v[38:41], a[140:143], a[68:71], v[38:41]// 0000000031F0: D3B50026 1C9A898C
	ds_read_b128 a[92:95], v21 offset:5120                     // 0000000031F8: DBFE1400 5C000015
	ds_read_b128 a[96:99], v21 offset:6144                     // 000000003200: DBFE1800 60000015
	ds_read_b128 a[100:103], v21 offset:7168                   // 000000003208: DBFE1C00 64000015
	ds_read_b128 a[104:107], v21 offset:8192                   // 000000003210: DBFE2000 68000015
	ds_read_b128 a[108:111], v21 offset:9216                   // 000000003218: DBFE2400 6C000015
	ds_read_b128 a[112:115], v21 offset:10240                  // 000000003220: DBFE2800 70000015
	ds_read_b128 a[116:119], v21 offset:11264                  // 000000003228: DBFE2C00 74000015
	ds_read_b128 a[120:123], v21 offset:12288                  // 000000003230: DBFE3000 78000015
	ds_read_b128 a[124:127], v21 offset:13312                  // 000000003238: DBFE3400 7C000015
	ds_read_b128 a[128:131], v21 offset:14336                  // 000000003240: DBFE3800 80000015
	ds_read_b128 a[132:135], v21 offset:15360                  // 000000003248: DBFE3C00 84000015
	ds_read_b128 a[136:139], v21 offset:16384                  // 000000003250: DBFE4000 88000015
	ds_read_b128 a[140:143], v21 offset:17408                  // 000000003258: DBFE4400 8C000015
	s_cmp_le_i32 s83, s82                                      // 000000003260: BF055253
	s_cbranch_scc1 label_1070                                  // 000000003264: BF850042
	v_mov_b32_e32 v28, s82                                     // 000000003268: 7E380252
	s_cmp_eq_i32 s81, 1                                        // 00000000326C: BF008151
	s_cbranch_scc1 label_0F8C                                  // 000000003270: BF850006
	s_cmp_eq_i32 s81, 2                                        // 000000003274: BF008251
	s_cbranch_scc1 label_0F84                                  // 000000003278: BF850002
	v_add_u32_e32 v28, s7, v28                                 // 00000000327C: 68383807
	s_branch label_0F8C                                        // 000000003280: BF820002

0000000000003284 <label_0F84>:
	s_lshr_b32 s56, s7, 1                                      // 000000003284: 8F388107
	v_add_u32_e32 v28, s56, v28                                // 000000003288: 68383838

000000000000328c <label_0F8C>:
	s_sub_u32 s56, s83, 31                                     // 00000000328C: 80B89F53
	v_lshrrev_b32_e32 v18, 4, v0                               // 000000003290: 20240084
	v_mul_i32_i24_e32 v18, 4, v18                              // 000000003294: 0C242484
	v_add_u32_e32 v18, s56, v18                                // 000000003298: 68242438
	v_add_u32_e32 v19, 1, v18                                  // 00000000329C: 68262481
	v_add_u32_e32 v20, 2, v18                                  // 0000000032A0: 68282482
	v_add_u32_e32 v21, 3, v18                                  // 0000000032A4: 682A2483
	v_mov_b32_e32 v29, 0xff800000                              // 0000000032A8: 7E3A02FF FF800000
	v_cmp_le_u32_e64 s[36:37], v18, v28                        // 0000000032B0: D0CB0024 00023912
	v_add_u32_e32 v18, 16, v18                                 // 0000000032B8: 68242490
	s_nop 0                                                    // 0000000032BC: BF800000
	v_cndmask_b32_e64 v34, v29, v34, s[36:37]                  // 0000000032C0: D1000022 0092451D
	v_cmp_le_u32_e64 s[36:37], v19, v28                        // 0000000032C8: D0CB0024 00023913
	v_add_u32_e32 v19, 16, v19                                 // 0000000032D0: 68262690
	s_nop 0                                                    // 0000000032D4: BF800000
	v_cndmask_b32_e64 v35, v29, v35, s[36:37]                  // 0000000032D8: D1000023 0092471D
	v_cmp_le_u32_e64 s[36:37], v20, v28                        // 0000000032E0: D0CB0024 00023914
	v_add_u32_e32 v20, 16, v20                                 // 0000000032E8: 68282890
	s_nop 0                                                    // 0000000032EC: BF800000
	v_cndmask_b32_e64 v36, v29, v36, s[36:37]                  // 0000000032F0: D1000024 0092491D
	v_cmp_le_u32_e64 s[36:37], v21, v28                        // 0000000032F8: D0CB0024 00023915
	v_add_u32_e32 v21, 16, v21                                 // 000000003300: 682A2A90
	s_nop 0                                                    // 000000003304: BF800000
	v_cndmask_b32_e64 v37, v29, v37, s[36:37]                  // 000000003308: D1000025 00924B1D
	v_cmp_le_u32_e64 s[36:37], v18, v28                        // 000000003310: D0CB0024 00023912
	v_add_u32_e32 v18, 16, v18                                 // 000000003318: 68242490
	s_nop 0                                                    // 00000000331C: BF800000
	v_cndmask_b32_e64 v38, v29, v38, s[36:37]                  // 000000003320: D1000026 00924D1D
	v_cmp_le_u32_e64 s[36:37], v19, v28                        // 000000003328: D0CB0024 00023913
	v_add_u32_e32 v19, 16, v19                                 // 000000003330: 68262690
	s_nop 0                                                    // 000000003334: BF800000
	v_cndmask_b32_e64 v39, v29, v39, s[36:37]                  // 000000003338: D1000027 00924F1D
	v_cmp_le_u32_e64 s[36:37], v20, v28                        // 000000003340: D0CB0024 00023914
	v_add_u32_e32 v20, 16, v20                                 // 000000003348: 68282890
	s_nop 0                                                    // 00000000334C: BF800000
	v_cndmask_b32_e64 v40, v29, v40, s[36:37]                  // 000000003350: D1000028 0092511D
	v_cmp_le_u32_e64 s[36:37], v21, v28                        // 000000003358: D0CB0024 00023915
	v_add_u32_e32 v21, 16, v21                                 // 000000003360: 682A2A90
	s_nop 0                                                    // 000000003364: BF800000
	v_cndmask_b32_e64 v41, v29, v41, s[36:37]                  // 000000003368: D1000029 0092531D

0000000000003370 <label_1070>:
	s_add_u32 s83, s84, s83                                    // 000000003370: 80535354
	s_nop 2                                                    // 000000003374: BF800002
	v_mov_b32_e32 v29, v34                                     // 000000003378: 7E3A0322
	v_max3_f32 v29, v34, v35, v29                              // 00000000337C: D1D3001D 04764722
	v_max3_f32 v29, v36, v37, v29                              // 000000003384: D1D3001D 04764B24
	v_max3_f32 v29, v38, v39, v29                              // 00000000338C: D1D3001D 04764F26
	v_max3_f32 v29, v40, v41, v29                              // 000000003394: D1D3001D 04765328
	v_mov_b32_e32 v28, v29                                     // 00000000339C: 7E38031D
	v_mov_b32_e32 v29, v29                                     // 0000000033A0: 7E3A031D
	s_nop 1                                                    // 0000000033A4: BF800001
	v_permlane16_swap_b32_e32 v28, v29                         // 0000000033A8: 7E38B31D
	v_mov_b32_e32 v31, v28                                     // 0000000033AC: 7E3E031C
	v_mov_b32_e32 v30, v29                                     // 0000000033B0: 7E3C031D
	s_nop 1                                                    // 0000000033B4: BF800001
	v_permlane32_swap_b32_e32 v28, v29                         // 0000000033B8: 7E38B51D
	v_permlane32_swap_b32_e32 v30, v31                         // 0000000033BC: 7E3CB51F
	v_max3_f32 v29, v28, v29, v29                              // 0000000033C0: D1D3001D 04763B1C
	v_max3_f32 v29, v30, v31, v29                              // 0000000033C8: D1D3001D 04763F1E
	v_mov_b32_e32 v28, 0xff800000                              // 0000000033D0: 7E3802FF FF800000
	v_cmp_eq_u32_e64 s[36:37], v28, v2                         // 0000000033D8: D0CA0024 0002051C
	v_max_f32_e32 v29, v29, v2                                 // 0000000033E0: 163A051D
	v_sub_f32_e32 v16, v2, v29                                 // 0000000033E4: 04203B02
	v_cndmask_b32_e64 v16, v16, 0, s[36:37]                    // 0000000033E8: D1000010 00910110
	v_mov_b32_e32 v2, v29                                      // 0000000033F0: 7E04031D
	v_mul_f32_e32 v29, s5, v29                                 // 0000000033F4: 0A3A3A05
	v_mul_f32_e32 v16, s5, v16                                 // 0000000033F8: 0A202005
	v_exp_f32_e32 v16, v16                                     // 0000000033FC: 7E204110
	v_fma_f32 v34, v34, s5, -v29                               // 000000003400: D1CB0022 84740B22
	v_fma_f32 v35, v35, s5, -v29                               // 000000003408: D1CB0023 84740B23
	v_fma_f32 v36, v36, s5, -v29                               // 000000003410: D1CB0024 84740B24
	v_fma_f32 v37, v37, s5, -v29                               // 000000003418: D1CB0025 84740B25
	v_fma_f32 v38, v38, s5, -v29                               // 000000003420: D1CB0026 84740B26
	v_fma_f32 v39, v39, s5, -v29                               // 000000003428: D1CB0027 84740B27
	v_fma_f32 v40, v40, s5, -v29                               // 000000003430: D1CB0028 84740B28
	v_fma_f32 v41, v41, s5, -v29                               // 000000003438: D1CB0029 84740B29
	v_exp_f32_e32 v34, v34                                     // 000000003440: 7E444122
	v_exp_f32_e32 v35, v35                                     // 000000003444: 7E464123
	v_exp_f32_e32 v36, v36                                     // 000000003448: 7E484124
	v_exp_f32_e32 v37, v37                                     // 00000000344C: 7E4A4125
	v_exp_f32_e32 v38, v38                                     // 000000003450: 7E4C4126
	v_exp_f32_e32 v39, v39                                     // 000000003454: 7E4E4127
	v_exp_f32_e32 v40, v40                                     // 000000003458: 7E504128
	v_exp_f32_e32 v41, v41                                     // 00000000345C: 7E524129
	v_mul_f32_e32 v4, v16, v4                                  // 000000003460: 0A080910
	v_mov_b32_e32 v28, v34                                     // 000000003464: 7E380322
	v_add_f32_e32 v28, v35, v28                                // 000000003468: 02383923
	v_add_f32_e32 v28, v36, v28                                // 00000000346C: 02383924
	v_add_f32_e32 v28, v37, v28                                // 000000003470: 02383925
	v_add_f32_e32 v28, v38, v28                                // 000000003474: 02383926
	;; [unrolled: 1-line block ×3, first 2 shown]
	v_add_f32_e32 v28, v40, v28                                // 00000000347C: 02383928
	v_add_f32_e32 v28, v41, v28                                // 000000003480: 02383929
	v_add_f32_e32 v4, v28, v4                                  // 000000003484: 0208091C
	v_cvt_pk_bf16_f32 v34, v34, v35                            // 000000003488: D2680022 00024722
	v_cvt_pk_bf16_f32 v35, v36, v37                            // 000000003490: D2680023 00024B24
	v_cvt_pk_bf16_f32 v36, v38, v39                            // 000000003498: D2680024 00024F26
	v_cvt_pk_bf16_f32 v37, v40, v41                            // 0000000034A0: D2680025 00025328
	s_nop 0                                                    // 0000000034A8: BF800000
	v_permlane32_swap_b32_e32 v34, v36                         // 0000000034AC: 7E44B524
	v_permlane32_swap_b32_e32 v35, v37                         // 0000000034B0: 7E46B525
	s_nop 0                                                    // 0000000034B4: BF800000
	v_permlane16_swap_b32_e32 v34, v36                         // 0000000034B8: 7E44B324
	v_permlane16_swap_b32_e32 v35, v37                         // 0000000034BC: 7E46B325
	s_addk_i32 s70, 0x1                                        // 0000000034C0: B7460001
	s_cmp_eq_u32 s71, s70                                      // 0000000034C4: BF064647
	s_cbranch_scc1 label_60E8                                  // 0000000034C8: BF8513C7
	s_waitcnt lgkmcnt(4)                                       // 0000000034CC: BF8CC47F
	v_mfma_f32_16x16x32_bf16 v[42:45], a[72:75], a[0:3], 0     // 0000000034D0: D3B5002A 1A020148
	v_mul_u32_u24_e64 v32, v25, s68                            // 0000000034D8: D1080020 00008919
	v_add_u32_e32 v32, v32, v1                                 // 0000000034E0: 68400320
	buffer_load_dword v23, v26, s[24:27], 0 offen              // 0000000034E4: E0501000 8006171A
	v_mfma_f32_16x16x32_bf16 v[42:45], a[76:79], a[4:7], v[42:45]// 0000000034EC: D3B5002A 1CAA094C
	s_mov_b32 s56, 0xb000                                      // 0000000034F4: BEB800FF 0000B000
	s_mul_i32 s57, s7, 0x2400                                  // 0000000034FC: 9239FF07 00002400
	s_add_u32 m0, s56, s57                                     // 000000003504: 807C3938
	buffer_load_dwordx4 v32, s[20:23], 0 offen lds             // 000000003508: E05D1000 80050020
	s_add_i32 m0, m0, 0x3c0                                    // 000000003510: 817CFF7C 000003C0
	v_mfma_f32_16x16x32_bf16 v[42:45], a[80:83], a[8:11], v[42:45]// 000000003518: D3B5002A 1CAA1150
	v_mfma_f32_16x16x32_bf16 v[42:45], a[84:87], a[12:15], v[42:45]// 000000003520: D3B5002A 1CAA1954
	buffer_load_dwordx4 v32, s[20:23], 0 offen offset:64 lds   // 000000003528: E05D1040 80050020
	s_add_i32 m0, m0, 0x3c0                                    // 000000003530: 817CFF7C 000003C0
	v_mfma_f32_16x16x32_bf16 v[42:45], a[88:91], a[16:19], v[42:45]// 000000003538: D3B5002A 1CAA2158
	ds_read_b128 a[72:75], v21 offset:18432                    // 000000003540: DBFE4800 48000015
	v_mfma_f32_16x16x32_bf16 v[42:45], a[92:95], a[20:23], v[42:45]// 000000003548: D3B5002A 1CAA295C
	buffer_load_dwordx4 v32, s[20:23], 0 offen offset:128 lds  // 000000003550: E05D1080 80050020
	s_add_i32 m0, m0, 0x3c0                                    // 000000003558: 817CFF7C 000003C0
	v_mfma_f32_16x16x32_bf16 v[42:45], a[96:99], a[24:27], v[42:45]// 000000003560: D3B5002A 1CAA3160
	ds_read_b128 a[76:79], v21 offset:19456                    // 000000003568: DBFE4C00 4C000015
	v_mfma_f32_16x16x32_bf16 v[42:45], a[100:103], a[28:31], v[42:45]// 000000003570: D3B5002A 1CAA3964
	buffer_load_dwordx4 v32, s[20:23], 0 offen offset:192 lds  // 000000003578: E05D10C0 80050020
	s_add_i32 m0, m0, 0x3c0                                    // 000000003580: 817CFF7C 000003C0
	v_mfma_f32_16x16x32_bf16 v[42:45], a[104:107], a[32:35], v[42:45]// 000000003588: D3B5002A 1CAA4168
	ds_read_b128 a[80:83], v21 offset:20480                    // 000000003590: DBFE5000 50000015
	v_mfma_f32_16x16x32_bf16 v[42:45], a[108:111], a[36:39], v[42:45]// 000000003598: D3B5002A 1CAA496C
	buffer_load_dwordx4 v32, s[20:23], 0 offen offset:256 lds  // 0000000035A0: E05D1100 80050020
	s_add_i32 m0, m0, 0x3c0                                    // 0000000035A8: 817CFF7C 000003C0
	v_mfma_f32_16x16x32_bf16 v[42:45], a[112:115], a[40:43], v[42:45]// 0000000035B0: D3B5002A 1CAA5170
	ds_read_b128 a[84:87], v21 offset:21504                    // 0000000035B8: DBFE5400 54000015
	v_mfma_f32_16x16x32_bf16 v[42:45], a[116:119], a[44:47], v[42:45]// 0000000035C0: D3B5002A 1CAA5974
	buffer_load_dwordx4 v32, s[20:23], 0 offen offset:320 lds  // 0000000035C8: E05D1140 80050020
	s_add_i32 m0, m0, 0x3c0                                    // 0000000035D0: 817CFF7C 000003C0
	v_mfma_f32_16x16x32_bf16 v[42:45], a[120:123], a[48:51], v[42:45]// 0000000035D8: D3B5002A 1CAA6178
	ds_read_b128 a[88:91], v21 offset:22528                    // 0000000035E0: DBFE5800 58000015
	v_mfma_f32_16x16x32_bf16 v[42:45], a[124:127], a[52:55], v[42:45]// 0000000035E8: D3B5002A 1CAA697C
	buffer_load_dwordx4 v32, s[20:23], 0 offen offset:384 lds  // 0000000035F0: E05D1180 80050020
	s_add_i32 m0, m0, 0x3c0                                    // 0000000035F8: 817CFF7C 000003C0
	v_mfma_f32_16x16x32_bf16 v[42:45], a[128:131], a[56:59], v[42:45]// 000000003600: D3B5002A 1CAA7180
	ds_read_b128 a[92:95], v21 offset:23552                    // 000000003608: DBFE5C00 5C000015
	v_mfma_f32_16x16x32_bf16 v[42:45], a[132:135], a[60:63], v[42:45]// 000000003610: D3B5002A 1CAA7984
	buffer_load_dwordx4 v32, s[20:23], 0 offen offset:448 lds  // 000000003618: E05D11C0 80050020
	s_add_i32 m0, m0, 0x3c0                                    // 000000003620: 817CFF7C 000003C0
	v_mfma_f32_16x16x32_bf16 v[42:45], a[136:139], a[64:67], v[42:45]// 000000003628: D3B5002A 1CAA8188
	ds_read_b128 a[96:99], v21 offset:24576                    // 000000003630: DBFE6000 60000015
	v_mfma_f32_16x16x32_bf16 v[42:45], a[140:143], a[68:71], v[42:45]// 000000003638: D3B5002A 1CAA898C
	buffer_load_dwordx4 v32, s[20:23], 0 offen offset:512 lds  // 000000003640: E05D1200 80050020
	s_add_i32 m0, m0, 0x3c0                                    // 000000003648: 817CFF7C 000003C0
	ds_read_b128 a[100:103], v21 offset:25600                  // 000000003650: DBFE6400 64000015
	ds_read_b128 a[104:107], v21 offset:26624                  // 000000003658: DBFE6800 68000015
	ds_read_b128 a[108:111], v21 offset:27648                  // 000000003660: DBFE6C00 6C000015
	ds_read_b128 a[112:115], v21 offset:28672                  // 000000003668: DBFE7000 70000015
	ds_read_b128 a[116:119], v21 offset:29696                  // 000000003670: DBFE7400 74000015
	ds_read_b128 a[120:123], v21 offset:30720                  // 000000003678: DBFE7800 78000015
	ds_read_b128 a[124:127], v21 offset:31744                  // 000000003680: DBFE7C00 7C000015
	ds_read_b128 a[128:131], v21 offset:32768                  // 000000003688: DBFE8000 80000015
	ds_read_b128 a[132:135], v21 offset:33792                  // 000000003690: DBFE8400 84000015
	ds_read_b128 a[136:139], v21 offset:34816                  // 000000003698: DBFE8800 88000015
	ds_read_b128 a[140:143], v21 offset:35840                  // 0000000036A0: DBFE8C00 8C000015
	v_add_u32_e32 v26, s73, v26                                // 0000000036A8: 68343449
	s_waitcnt lgkmcnt(4)                                       // 0000000036AC: BF8CC47F
	v_mfma_f32_16x16x32_bf16 v[46:49], a[72:75], a[0:3], 0     // 0000000036B0: D3B5002E 1A020148
	ds_read_b64_tr_b16 a[144:145], v12                         // 0000000036B8: DBC60000 9000000C
	ds_read_b64_tr_b16 a[146:147], v12 offset:256              // 0000000036C0: DBC60100 9200000C
	ds_read_b64_tr_b16 a[148:149], v13                         // 0000000036C8: DBC60000 9400000D
	ds_read_b64_tr_b16 a[150:151], v13 offset:256              // 0000000036D0: DBC60100 9600000D
	v_mfma_f32_16x16x32_bf16 v[46:49], a[76:79], a[4:7], v[46:49]// 0000000036D8: D3B5002E 1CBA094C
	v_mfma_f32_16x16x32_bf16 v[46:49], a[80:83], a[8:11], v[46:49]// 0000000036E0: D3B5002E 1CBA1150
	ds_read_b64_tr_b16 a[152:153], v12 offset:1024             // 0000000036E8: DBC60400 9800000C
	ds_read_b64_tr_b16 a[154:155], v12 offset:1280             // 0000000036F0: DBC60500 9A00000C
	ds_read_b64_tr_b16 a[156:157], v13 offset:1024             // 0000000036F8: DBC60400 9C00000D
	ds_read_b64_tr_b16 a[158:159], v13 offset:1280             // 000000003700: DBC60500 9E00000D
	v_mfma_f32_16x16x32_bf16 v[46:49], a[84:87], a[12:15], v[46:49]// 000000003708: D3B5002E 1CBA1954
	v_mfma_f32_16x16x32_bf16 v[46:49], a[88:91], a[16:19], v[46:49]// 000000003710: D3B5002E 1CBA2158
	ds_read_b64_tr_b16 a[160:161], v12 offset:2048             // 000000003718: DBC60800 A000000C
	ds_read_b64_tr_b16 a[162:163], v12 offset:2304             // 000000003720: DBC60900 A200000C
	ds_read_b64_tr_b16 a[164:165], v13 offset:2048             // 000000003728: DBC60800 A400000D
	ds_read_b64_tr_b16 a[166:167], v13 offset:2304             // 000000003730: DBC60900 A600000D
	v_mfma_f32_16x16x32_bf16 v[46:49], a[92:95], a[20:23], v[46:49]// 000000003738: D3B5002E 1CBA295C
	v_mfma_f32_16x16x32_bf16 v[46:49], a[96:99], a[24:27], v[46:49]// 000000003740: D3B5002E 1CBA3160
	ds_read_b64_tr_b16 a[168:169], v12 offset:3072             // 000000003748: DBC60C00 A800000C
	ds_read_b64_tr_b16 a[170:171], v12 offset:3328             // 000000003750: DBC60D00 AA00000C
	ds_read_b64_tr_b16 a[172:173], v13 offset:3072             // 000000003758: DBC60C00 AC00000D
	ds_read_b64_tr_b16 a[174:175], v13 offset:3328             // 000000003760: DBC60D00 AE00000D
	v_mfma_f32_16x16x32_bf16 v[46:49], a[100:103], a[28:31], v[46:49]// 000000003768: D3B5002E 1CBA3964
	v_mfma_f32_16x16x32_bf16 v[46:49], a[104:107], a[32:35], v[46:49]// 000000003770: D3B5002E 1CBA4168
	ds_read_b64_tr_b16 a[176:177], v12 offset:4096             // 000000003778: DBC61000 B000000C
	ds_read_b64_tr_b16 a[178:179], v12 offset:4352             // 000000003780: DBC61100 B200000C
	ds_read_b64_tr_b16 a[180:181], v13 offset:4096             // 000000003788: DBC61000 B400000D
	ds_read_b64_tr_b16 a[182:183], v13 offset:4352             // 000000003790: DBC61100 B600000D
	v_mfma_f32_16x16x32_bf16 v[46:49], a[108:111], a[36:39], v[46:49]// 000000003798: D3B5002E 1CBA496C
	v_mfma_f32_16x16x32_bf16 v[46:49], a[112:115], a[40:43], v[46:49]// 0000000037A0: D3B5002E 1CBA5170
	ds_read_b64_tr_b16 a[184:185], v12 offset:5120             // 0000000037A8: DBC61400 B800000C
	ds_read_b64_tr_b16 a[186:187], v12 offset:5376             // 0000000037B0: DBC61500 BA00000C
	ds_read_b64_tr_b16 a[188:189], v13 offset:5120             // 0000000037B8: DBC61400 BC00000D
	ds_read_b64_tr_b16 a[190:191], v13 offset:5376             // 0000000037C0: DBC61500 BE00000D
	v_mfma_f32_16x16x32_bf16 v[46:49], a[116:119], a[44:47], v[46:49]// 0000000037C8: D3B5002E 1CBA5974
	v_mfma_f32_16x16x32_bf16 v[46:49], a[120:123], a[48:51], v[46:49]// 0000000037D0: D3B5002E 1CBA6178
	ds_read_b64_tr_b16 a[192:193], v12 offset:6144             // 0000000037D8: DBC61800 C000000C
	ds_read_b64_tr_b16 a[194:195], v12 offset:6400             // 0000000037E0: DBC61900 C200000C
	ds_read_b64_tr_b16 a[196:197], v13 offset:6144             // 0000000037E8: DBC61800 C400000D
	ds_read_b64_tr_b16 a[198:199], v13 offset:6400             // 0000000037F0: DBC61900 C600000D
	v_mfma_f32_16x16x32_bf16 v[46:49], a[124:127], a[52:55], v[46:49]// 0000000037F8: D3B5002E 1CBA697C
	v_mfma_f32_16x16x32_bf16 v[46:49], a[128:131], a[56:59], v[46:49]// 000000003800: D3B5002E 1CBA7180
	ds_read_b64_tr_b16 a[200:201], v12 offset:7168             // 000000003808: DBC61C00 C800000C
	ds_read_b64_tr_b16 a[202:203], v12 offset:7424             // 000000003810: DBC61D00 CA00000C
	ds_read_b64_tr_b16 a[204:205], v13 offset:7168             // 000000003818: DBC61C00 CC00000D
	ds_read_b64_tr_b16 a[206:207], v13 offset:7424             // 000000003820: DBC61D00 CE00000D
	v_mfma_f32_16x16x32_bf16 v[46:49], a[132:135], a[60:63], v[46:49]// 000000003828: D3B5002E 1CBA7984
	v_mfma_f32_16x16x32_bf16 v[46:49], a[136:139], a[64:67], v[46:49]// 000000003830: D3B5002E 1CBA8188
	v_mfma_f32_16x16x32_bf16 v[46:49], a[140:143], a[68:71], v[46:49]// 000000003838: D3B5002E 1CBA898C
	s_addk_i32 s70, 0x1                                        // 000000003840: B7460001
	s_cmp_eq_u32 s71, s70                                      // 000000003844: BF064647
	s_cbranch_scc1 label_63F0                                  // 000000003848: BF8513A9
	s_cmp_lt_i32 s7, 2                                         // 00000000384C: BF048207
	s_cbranch_scc0 label_3B24                                  // 000000003850: BF840974

0000000000003854 <label_1554>:
	s_waitcnt lgkmcnt(0)                                       // 000000003854: BF8CC07F
	v_mul_u32_u24_e64 v32, v22, s68                            // 000000003858: D1080020 00008916
	v_add_u32_e32 v32, v32, v1                                 // 000000003860: 68400320
	v_mfma_f32_16x16x32_bf16 v[50:53], a[144:147], v[34:37], v[50:53]// 000000003864: D3B50032 0CCA4590
	v_mov_b32_e32 v29, v42                                     // 00000000386C: 7E3A032A
	v_max3_f32 v29, v42, v43, v29                              // 000000003870: D1D3001D 0476572A
	v_mfma_f32_16x16x32_bf16 v[54:57], a[148:151], v[34:37], v[54:57]// 000000003878: D3B50036 0CDA4594
	ds_read_b64_tr_b16 a[144:145], v12 offset:8192             // 000000003880: DBC62000 9000000C
	ds_read_b64_tr_b16 a[146:147], v12 offset:8448             // 000000003888: DBC62100 9200000C
	v_mfma_f32_16x16x32_bf16 v[58:61], a[152:155], v[34:37], v[58:61]// 000000003890: D3B5003A 0CEA4598
	v_max3_f32 v29, v44, v45, v29                              // 000000003898: D1D3001D 04765B2C
	v_max3_f32 v29, v46, v47, v29                              // 0000000038A0: D1D3001D 04765F2E
	v_mfma_f32_16x16x32_bf16 v[62:65], a[156:159], v[34:37], v[62:65]// 0000000038A8: D3B5003E 0CFA459C
	ds_read_b64_tr_b16 a[148:149], v13 offset:8192             // 0000000038B0: DBC62000 9400000D
	ds_read_b64_tr_b16 a[150:151], v13 offset:8448             // 0000000038B8: DBC62100 9600000D
	v_mfma_f32_16x16x32_bf16 v[66:69], a[160:163], v[34:37], v[66:69]// 0000000038C0: D3B50042 0D0A45A0
	v_max3_f32 v29, v48, v49, v29                              // 0000000038C8: D1D3001D 04766330
	v_mov_b32_e32 v28, v29                                     // 0000000038D0: 7E38031D
	v_mfma_f32_16x16x32_bf16 v[70:73], a[164:167], v[34:37], v[70:73]// 0000000038D4: D3B50046 0D1A45A4
	ds_read_b64_tr_b16 a[152:153], v12 offset:9216             // 0000000038DC: DBC62400 9800000C
	ds_read_b64_tr_b16 a[154:155], v12 offset:9472             // 0000000038E4: DBC62500 9A00000C
	v_mfma_f32_16x16x32_bf16 v[74:77], a[168:171], v[34:37], v[74:77]// 0000000038EC: D3B5004A 0D2A45A8
	v_mov_b32_e32 v29, v29                                     // 0000000038F4: 7E3A031D
	s_nop 1                                                    // 0000000038F8: BF800001
	v_mfma_f32_16x16x32_bf16 v[78:81], a[172:175], v[34:37], v[78:81]// 0000000038FC: D3B5004E 0D3A45AC
	ds_read_b64_tr_b16 a[156:157], v13 offset:9216             // 000000003904: DBC62400 9C00000D
	ds_read_b64_tr_b16 a[158:159], v13 offset:9472             // 00000000390C: DBC62500 9E00000D
	v_mfma_f32_16x16x32_bf16 v[82:85], a[176:179], v[34:37], v[82:85]// 000000003914: D3B50052 0D4A45B0
	v_permlane16_swap_b32_e32 v28, v29                         // 00000000391C: 7E38B31D
	v_mfma_f32_16x16x32_bf16 v[86:89], a[180:183], v[34:37], v[86:89]// 000000003920: D3B50056 0D5A45B4
	ds_read_b64_tr_b16 a[160:161], v12 offset:10240            // 000000003928: DBC62800 A000000C
	ds_read_b64_tr_b16 a[162:163], v12 offset:10496            // 000000003930: DBC62900 A200000C
	v_mfma_f32_16x16x32_bf16 v[90:93], a[184:187], v[34:37], v[90:93]// 000000003938: D3B5005A 0D6A45B8
	v_mov_b32_e32 v31, v28                                     // 000000003940: 7E3E031C
	v_mov_b32_e32 v30, v29                                     // 000000003944: 7E3C031D
	v_mfma_f32_16x16x32_bf16 v[94:97], a[188:191], v[34:37], v[94:97]// 000000003948: D3B5005E 0D7A45BC
	ds_read_b64_tr_b16 a[164:165], v13 offset:10240            // 000000003950: DBC62800 A400000D
	ds_read_b64_tr_b16 a[166:167], v13 offset:10496            // 000000003958: DBC62900 A600000D
	v_mfma_f32_16x16x32_bf16 v[98:101], a[192:195], v[34:37], v[98:101]// 000000003960: D3B50062 0D8A45C0
	s_nop 1                                                    // 000000003968: BF800001
	v_permlane32_swap_b32_e32 v28, v29                         // 00000000396C: 7E38B51D
	v_mfma_f32_16x16x32_bf16 v[102:105], a[196:199], v[34:37], v[102:105]// 000000003970: D3B50066 0D9A45C4
	ds_read_b64_tr_b16 a[168:169], v12 offset:11264            // 000000003978: DBC62C00 A800000C
	ds_read_b64_tr_b16 a[170:171], v12 offset:11520            // 000000003980: DBC62D00 AA00000C
	v_mfma_f32_16x16x32_bf16 v[106:109], a[200:203], v[34:37], v[106:109]// 000000003988: D3B5006A 0DAA45C8
	v_permlane32_swap_b32_e32 v30, v31                         // 000000003990: 7E3CB51F
	v_mfma_f32_16x16x32_bf16 v[110:113], a[204:207], v[34:37], v[110:113]// 000000003994: D3B5006E 0DBA45CC
	ds_read_b64_tr_b16 a[172:173], v13 offset:11264            // 00000000399C: DBC62C00 AC00000D
	ds_read_b64_tr_b16 a[174:175], v13 offset:11520            // 0000000039A4: DBC62D00 AE00000D
	ds_read_b64_tr_b16 a[176:177], v12 offset:12288            // 0000000039AC: DBC63000 B000000C
	ds_read_b64_tr_b16 a[178:179], v12 offset:12544            // 0000000039B4: DBC63100 B200000C
	ds_read_b64_tr_b16 a[180:181], v13 offset:12288            // 0000000039BC: DBC63000 B400000D
	ds_read_b64_tr_b16 a[182:183], v13 offset:12544            // 0000000039C4: DBC63100 B600000D
	ds_read_b64_tr_b16 a[184:185], v12 offset:13312            // 0000000039CC: DBC63400 B800000C
	ds_read_b64_tr_b16 a[186:187], v12 offset:13568            // 0000000039D4: DBC63500 BA00000C
	ds_read_b64_tr_b16 a[188:189], v13 offset:13312            // 0000000039DC: DBC63400 BC00000D
	ds_read_b64_tr_b16 a[190:191], v13 offset:13568            // 0000000039E4: DBC63500 BE00000D
	s_waitcnt lgkmcnt(0)                                       // 0000000039EC: BF8CC07F
	v_mfma_f32_16x16x32_bf16 v[114:117], a[144:147], v[34:37], v[114:117]// 0000000039F0: D3B50072 0DCA4590
	ds_read_b64_tr_b16 a[192:193], v12 offset:14336            // 0000000039F8: DBC63800 C000000C
	ds_read_b64_tr_b16 a[194:195], v12 offset:14592            // 000000003A00: DBC63900 C200000C
	v_mfma_f32_16x16x32_bf16 v[118:121], a[148:151], v[34:37], v[118:121]// 000000003A08: D3B50076 0DDA4594
	s_waitcnt vmcnt(10)                                        // 000000003A10: BF8C0F7A
	s_barrier                                                  // 000000003A14: BF8A0000
	ds_read_b128 a[72:75], v18                                 // 000000003A18: DBFE0000 48000012
	ds_read_b128 a[76:79], v18 offset:1024                     // 000000003A20: DBFE0400 4C000012
	v_mfma_f32_16x16x32_bf16 v[122:125], a[152:155], v[34:37], v[122:125]// 000000003A28: D3B5007A 0DEA4598
	ds_read_b64_tr_b16 a[196:197], v13 offset:14336            // 000000003A30: DBC63800 C400000D
	ds_read_b64_tr_b16 a[198:199], v13 offset:14592            // 000000003A38: DBC63900 C600000D
	v_mfma_f32_16x16x32_bf16 v[126:129], a[156:159], v[34:37], v[126:129]// 000000003A40: D3B5007E 0DFA459C
	ds_read_b128 a[80:83], v18 offset:2048                     // 000000003A48: DBFE0800 50000012
	ds_read_b128 a[84:87], v18 offset:3072                     // 000000003A50: DBFE0C00 54000012
	v_mfma_f32_16x16x32_bf16 v[130:133], a[160:163], v[34:37], v[130:133]// 000000003A58: D3B50082 0E0A45A0
	ds_read_b64_tr_b16 a[200:201], v12 offset:15360            // 000000003A60: DBC63C00 C800000C
	ds_read_b64_tr_b16 a[202:203], v12 offset:15616            // 000000003A68: DBC63D00 CA00000C
	v_mfma_f32_16x16x32_bf16 v[134:137], a[164:167], v[34:37], v[134:137]// 000000003A70: D3B50086 0E1A45A4
	ds_read_b128 a[88:91], v18 offset:4096                     // 000000003A78: DBFE1000 58000012
	ds_read_b128 a[92:95], v18 offset:5120                     // 000000003A80: DBFE1400 5C000012
	v_mfma_f32_16x16x32_bf16 v[138:141], a[168:171], v[34:37], v[138:141]// 000000003A88: D3B5008A 0E2A45A8
	ds_read_b64_tr_b16 a[204:205], v13 offset:15360            // 000000003A90: DBC63C00 CC00000D
	ds_read_b64_tr_b16 a[206:207], v13 offset:15616            // 000000003A98: DBC63D00 CE00000D
	v_mfma_f32_16x16x32_bf16 v[142:145], a[172:175], v[34:37], v[142:145]// 000000003AA0: D3B5008E 0E3A45AC
	ds_read_b128 a[96:99], v18 offset:6144                     // 000000003AA8: DBFE1800 60000012
	ds_read_b128 a[100:103], v18 offset:7168                   // 000000003AB0: DBFE1C00 64000012
	v_mfma_f32_16x16x32_bf16 v[146:149], a[176:179], v[34:37], v[146:149]// 000000003AB8: D3B50092 0E4A45B0
	v_max3_f32 v29, v28, v29, v29                              // 000000003AC0: D1D3001D 04763B1C
	v_max3_f32 v29, v30, v31, v29                              // 000000003AC8: D1D3001D 04763F1E
	v_mfma_f32_16x16x32_bf16 v[150:153], a[180:183], v[34:37], v[150:153]// 000000003AD0: D3B50096 0E5A45B4
	ds_read_b128 a[104:107], v18 offset:8192                   // 000000003AD8: DBFE2000 68000012
	ds_read_b128 a[108:111], v18 offset:9216                   // 000000003AE0: DBFE2400 6C000012
	v_mfma_f32_16x16x32_bf16 v[154:157], a[184:187], v[34:37], v[154:157]// 000000003AE8: D3B5009A 0E6A45B8
	v_mov_b32_e32 v28, 0xff800000                              // 000000003AF0: 7E3802FF FF800000
	v_cmp_eq_u32_e64 s[36:37], v28, v2                         // 000000003AF8: D0CA0024 0002051C
	v_mfma_f32_16x16x32_bf16 v[158:161], a[188:191], v[34:37], v[158:161]// 000000003B00: D3B5009E 0E7A45BC
	ds_read_b128 a[112:115], v18 offset:10240                  // 000000003B08: DBFE2800 70000012
	ds_read_b128 a[116:119], v18 offset:11264                  // 000000003B10: DBFE2C00 74000012
	v_mfma_f32_16x16x32_bf16 v[162:165], a[192:195], v[34:37], v[162:165]// 000000003B18: D3B500A2 0E8A45C0
	v_max_f32_e32 v29, v29, v2                                 // 000000003B20: 163A051D
	v_sub_f32_e32 v16, v2, v29                                 // 000000003B24: 04203B02
	v_mfma_f32_16x16x32_bf16 v[166:169], a[196:199], v[34:37], v[166:169]// 000000003B28: D3B500A6 0E9A45C4
	ds_read_b128 a[120:123], v18 offset:12288                  // 000000003B30: DBFE3000 78000012
	ds_read_b128 a[124:127], v18 offset:13312                  // 000000003B38: DBFE3400 7C000012
	v_mfma_f32_16x16x32_bf16 v[170:173], a[200:203], v[34:37], v[170:173]// 000000003B40: D3B500AA 0EAA45C8
	v_cndmask_b32_e64 v16, v16, 0, s[36:37]                    // 000000003B48: D1000010 00910110
	v_mov_b32_e32 v2, v29                                      // 000000003B50: 7E04031D
	v_mfma_f32_16x16x32_bf16 v[174:177], a[204:207], v[34:37], v[174:177]// 000000003B54: D3B500AE 0EBA45CC
	ds_read_b128 a[128:131], v18 offset:14336                  // 000000003B5C: DBFE3800 80000012
	ds_read_b128 a[132:135], v18 offset:15360                  // 000000003B64: DBFE3C00 84000012
	ds_read_b128 a[136:139], v18 offset:16384                  // 000000003B6C: DBFE4000 88000012
	ds_read_b128 a[140:143], v18 offset:17408                  // 000000003B74: DBFE4400 8C000012
	s_waitcnt lgkmcnt(0)                                       // 000000003B7C: BF8CC07F
	v_mfma_f32_16x16x32_bf16 v[34:37], a[72:75], a[0:3], 0     // 000000003B80: D3B50022 1A020148
	buffer_load_dword v24, v26, s[24:27], 0 offen              // 000000003B88: E0501000 8006181A
	v_mul_f32_e32 v29, s5, v29                                 // 000000003B90: 0A3A3A05
	s_mov_b32 s56, 0x14000                                     // 000000003B94: BEB800FF 00014000
	s_mul_i32 s57, s7, 0x2400                                  // 000000003B9C: 9239FF07 00002400
	s_add_u32 m0, s56, s57                                     // 000000003BA4: 807C3938
	buffer_load_dwordx4 v32, s[20:23], 0 offen lds             // 000000003BA8: E05D1000 80050020
	s_add_i32 m0, m0, 0x3c0                                    // 000000003BB0: 817CFF7C 000003C0
	v_mfma_f32_16x16x32_bf16 v[34:37], a[76:79], a[4:7], v[34:37]// 000000003BB8: D3B50022 1C8A094C
	buffer_load_dwordx4 v32, s[20:23], 0 offen offset:64 lds   // 000000003BC0: E05D1040 80050020
	s_add_i32 m0, m0, 0x3c0                                    // 000000003BC8: 817CFF7C 000003C0
	v_mfma_f32_16x16x32_bf16 v[34:37], a[80:83], a[8:11], v[34:37]// 000000003BD0: D3B50022 1C8A1150
	v_mul_f32_e32 v16, s5, v16                                 // 000000003BD8: 0A202005
	v_exp_f32_e32 v16, v16                                     // 000000003BDC: 7E204110
	v_mfma_f32_16x16x32_bf16 v[34:37], a[84:87], a[12:15], v[34:37]// 000000003BE0: D3B50022 1C8A1954
	v_add_u32_e32 v26, s73, v26                                // 000000003BE8: 68343449
	ds_read_b128 a[72:75], v18 offset:18432                    // 000000003BEC: DBFE4800 48000012
	ds_read_b128 a[76:79], v18 offset:19456                    // 000000003BF4: DBFE4C00 4C000012
	v_fma_f32 v42, v42, s5, -v29                               // 000000003BFC: D1CB002A 84740B2A
	v_mfma_f32_16x16x32_bf16 v[34:37], a[88:91], a[16:19], v[34:37]// 000000003C04: D3B50022 1C8A2158
	ds_read_b128 a[80:83], v18 offset:20480                    // 000000003C0C: DBFE5000 50000012
	ds_read_b128 a[84:87], v18 offset:21504                    // 000000003C14: DBFE5400 54000012
	v_fma_f32 v43, v43, s5, -v29                               // 000000003C1C: D1CB002B 84740B2B
	v_mfma_f32_16x16x32_bf16 v[34:37], a[92:95], a[20:23], v[34:37]// 000000003C24: D3B50022 1C8A295C
	buffer_load_dwordx4 v32, s[20:23], 0 offen offset:128 lds  // 000000003C2C: E05D1080 80050020
	s_add_i32 m0, m0, 0x3c0                                    // 000000003C34: 817CFF7C 000003C0
	v_mfma_f32_16x16x32_bf16 v[34:37], a[96:99], a[24:27], v[34:37]// 000000003C3C: D3B50022 1C8A3160
	v_fma_f32 v44, v44, s5, -v29                               // 000000003C44: D1CB002C 84740B2C
	v_fma_f32 v45, v45, s5, -v29                               // 000000003C4C: D1CB002D 84740B2D
	v_mfma_f32_16x16x32_bf16 v[34:37], a[100:103], a[28:31], v[34:37]// 000000003C54: D3B50022 1C8A3964
	ds_read_b128 a[88:91], v18 offset:22528                    // 000000003C5C: DBFE5800 58000012
	ds_read_b128 a[92:95], v18 offset:23552                    // 000000003C64: DBFE5C00 5C000012
	v_fma_f32 v46, v46, s5, -v29                               // 000000003C6C: D1CB002E 84740B2E
	v_mfma_f32_16x16x32_bf16 v[34:37], a[104:107], a[32:35], v[34:37]// 000000003C74: D3B50022 1C8A4168
	ds_read_b128 a[96:99], v18 offset:24576                    // 000000003C7C: DBFE6000 60000012
	ds_read_b128 a[100:103], v18 offset:25600                  // 000000003C84: DBFE6400 64000012
	v_fma_f32 v47, v47, s5, -v29                               // 000000003C8C: D1CB002F 84740B2F
	v_mfma_f32_16x16x32_bf16 v[34:37], a[108:111], a[36:39], v[34:37]// 000000003C94: D3B50022 1C8A496C
	buffer_load_dwordx4 v32, s[20:23], 0 offen offset:192 lds  // 000000003C9C: E05D10C0 80050020
	s_add_i32 m0, m0, 0x3c0                                    // 000000003CA4: 817CFF7C 000003C0
	v_mfma_f32_16x16x32_bf16 v[34:37], a[112:115], a[40:43], v[34:37]// 000000003CAC: D3B50022 1C8A5170
	v_fma_f32 v48, v48, s5, -v29                               // 000000003CB4: D1CB0030 84740B30
	v_fma_f32 v49, v49, s5, -v29                               // 000000003CBC: D1CB0031 84740B31
	v_mfma_f32_16x16x32_bf16 v[34:37], a[116:119], a[44:47], v[34:37]// 000000003CC4: D3B50022 1C8A5974
	v_exp_f32_e32 v42, v42                                     // 000000003CCC: 7E54412A
	v_mfma_f32_16x16x32_bf16 v[34:37], a[120:123], a[48:51], v[34:37]// 000000003CD0: D3B50022 1C8A6178
	ds_read_b128 a[104:107], v18 offset:26624                  // 000000003CD8: DBFE6800 68000012
	ds_read_b128 a[108:111], v18 offset:27648                  // 000000003CE0: DBFE6C00 6C000012
	v_exp_f32_e32 v43, v43                                     // 000000003CE8: 7E56412B
	v_mfma_f32_16x16x32_bf16 v[34:37], a[124:127], a[52:55], v[34:37]// 000000003CEC: D3B50022 1C8A697C
	buffer_load_dwordx4 v32, s[20:23], 0 offen offset:256 lds  // 000000003CF4: E05D1100 80050020
	s_add_i32 m0, m0, 0x3c0                                    // 000000003CFC: 817CFF7C 000003C0
	v_mfma_f32_16x16x32_bf16 v[34:37], a[128:131], a[56:59], v[34:37]// 000000003D04: D3B50022 1C8A7180
	v_exp_f32_e32 v44, v44                                     // 000000003D0C: 7E58412C
	v_mfma_f32_16x16x32_bf16 v[34:37], a[132:135], a[60:63], v[34:37]// 000000003D10: D3B50022 1C8A7984
	ds_read_b128 a[112:115], v18 offset:28672                  // 000000003D18: DBFE7000 70000012
	ds_read_b128 a[116:119], v18 offset:29696                  // 000000003D20: DBFE7400 74000012
	v_exp_f32_e32 v45, v45                                     // 000000003D28: 7E5A412D
	v_mfma_f32_16x16x32_bf16 v[34:37], a[136:139], a[64:67], v[34:37]// 000000003D2C: D3B50022 1C8A8188
	ds_read_b128 a[120:123], v18 offset:30720                  // 000000003D34: DBFE7800 78000012
	ds_read_b128 a[124:127], v18 offset:31744                  // 000000003D3C: DBFE7C00 7C000012
	v_exp_f32_e32 v46, v46                                     // 000000003D44: 7E5C412E
	v_mfma_f32_16x16x32_bf16 v[34:37], a[140:143], a[68:71], v[34:37]// 000000003D48: D3B50022 1C8A898C
	ds_read_b128 a[128:131], v18 offset:32768                  // 000000003D50: DBFE8000 80000012
	ds_read_b128 a[132:135], v18 offset:33792                  // 000000003D58: DBFE8400 84000012
	v_exp_f32_e32 v47, v47                                     // 000000003D60: 7E5E412F
	ds_read_b128 a[136:139], v18 offset:34816                  // 000000003D64: DBFE8800 88000012
	ds_read_b128 a[140:143], v18 offset:35840                  // 000000003D6C: DBFE8C00 8C000012
	v_exp_f32_e32 v48, v48                                     // 000000003D74: 7E604130
	v_exp_f32_e32 v49, v49                                     // 000000003D78: 7E624131
	v_mul_f32_e32 v4, v16, v4                                  // 000000003D7C: 0A080910
	v_mov_b32_e32 v28, v42                                     // 000000003D80: 7E38032A
	v_add_f32_e32 v28, v43, v28                                // 000000003D84: 0238392B
	v_add_f32_e32 v28, v44, v28                                // 000000003D88: 0238392C
	v_add_f32_e32 v28, v45, v28                                // 000000003D8C: 0238392D
	v_add_f32_e32 v28, v46, v28                                // 000000003D90: 0238392E
	v_add_f32_e32 v28, v47, v28                                // 000000003D94: 0238392F
	v_add_f32_e32 v28, v48, v28                                // 000000003D98: 02383930
	v_add_f32_e32 v28, v49, v28                                // 000000003D9C: 02383931
	v_add_f32_e32 v4, v28, v4                                  // 000000003DA0: 0208091C
	v_cvt_pk_bf16_f32 v42, v42, v43                            // 000000003DA4: D268002A 0002572A
	v_cvt_pk_bf16_f32 v43, v44, v45                            // 000000003DAC: D268002B 00025B2C
	v_cvt_pk_bf16_f32 v44, v46, v47                            // 000000003DB4: D268002C 00025F2E
	v_cvt_pk_bf16_f32 v45, v48, v49                            // 000000003DBC: D268002D 00026330
	s_nop 0                                                    // 000000003DC4: BF800000
	v_permlane32_swap_b32_e32 v42, v44                         // 000000003DC8: 7E54B52C
	v_permlane32_swap_b32_e32 v43, v45                         // 000000003DCC: 7E56B52D
	s_nop 0                                                    // 000000003DD0: BF800000
	v_permlane16_swap_b32_e32 v42, v44                         // 000000003DD4: 7E54B32C
	v_permlane16_swap_b32_e32 v43, v45                         // 000000003DD8: 7E56B32D
	s_waitcnt lgkmcnt(0)                                       // 000000003DDC: BF8CC07F
	v_mfma_f32_16x16x32_bf16 v[38:41], a[72:75], a[0:3], 0     // 000000003DE0: D3B50026 1A020148
	v_mul_f32_e32 v50, v16, v50                                // 000000003DE8: 0A646510
	v_mul_f32_e32 v51, v16, v51                                // 000000003DEC: 0A666710
	ds_read_b64_tr_b16 a[144:145], v14                         // 000000003DF0: DBC60000 9000000E
	ds_read_b64_tr_b16 a[146:147], v14 offset:256              // 000000003DF8: DBC60100 9200000E
	v_mfma_f32_16x16x32_bf16 v[38:41], a[76:79], a[4:7], v[38:41]// 000000003E00: D3B50026 1C9A094C
	buffer_load_dwordx4 v32, s[20:23], 0 offen offset:320 lds  // 000000003E08: E05D1140 80050020
	s_add_i32 m0, m0, 0x3c0                                    // 000000003E10: 817CFF7C 000003C0
	v_mul_f32_e32 v52, v16, v52                                // 000000003E18: 0A686910
	v_mul_f32_e32 v53, v16, v53                                // 000000003E1C: 0A6A6B10
	v_mfma_f32_16x16x32_bf16 v[38:41], a[80:83], a[8:11], v[38:41]// 000000003E20: D3B50026 1C9A1150
	v_mul_f32_e32 v54, v16, v54                                // 000000003E28: 0A6C6D10
	v_mul_f32_e32 v55, v16, v55                                // 000000003E2C: 0A6E6F10
	ds_read_b64_tr_b16 a[148:149], v15                         // 000000003E30: DBC60000 9400000F
	ds_read_b64_tr_b16 a[150:151], v15 offset:256              // 000000003E38: DBC60100 9600000F
	v_mfma_f32_16x16x32_bf16 v[38:41], a[84:87], a[12:15], v[38:41]// 000000003E40: D3B50026 1C9A1954
	v_mul_f32_e32 v56, v16, v56                                // 000000003E48: 0A707110
	v_mul_f32_e32 v57, v16, v57                                // 000000003E4C: 0A727310
	ds_read_b64_tr_b16 a[152:153], v14 offset:1024             // 000000003E50: DBC60400 9800000E
	ds_read_b64_tr_b16 a[154:155], v14 offset:1280             // 000000003E58: DBC60500 9A00000E
	v_mfma_f32_16x16x32_bf16 v[38:41], a[88:91], a[16:19], v[38:41]// 000000003E60: D3B50026 1C9A2158
	v_mul_f32_e32 v58, v16, v58                                // 000000003E68: 0A747510
	v_mul_f32_e32 v59, v16, v59                                // 000000003E6C: 0A767710
	ds_read_b64_tr_b16 a[156:157], v15 offset:1024             // 000000003E70: DBC60400 9C00000F
	ds_read_b64_tr_b16 a[158:159], v15 offset:1280             // 000000003E78: DBC60500 9E00000F
	v_mfma_f32_16x16x32_bf16 v[38:41], a[92:95], a[20:23], v[38:41]// 000000003E80: D3B50026 1C9A295C
	v_mul_f32_e32 v60, v16, v60                                // 000000003E88: 0A787910
	v_mul_f32_e32 v61, v16, v61                                // 000000003E8C: 0A7A7B10
	ds_read_b64_tr_b16 a[160:161], v14 offset:2048             // 000000003E90: DBC60800 A000000E
	ds_read_b64_tr_b16 a[162:163], v14 offset:2304             // 000000003E98: DBC60900 A200000E
	v_mfma_f32_16x16x32_bf16 v[38:41], a[96:99], a[24:27], v[38:41]// 000000003EA0: D3B50026 1C9A3160
	v_mul_f32_e32 v62, v16, v62                                // 000000003EA8: 0A7C7D10
	v_mul_f32_e32 v63, v16, v63                                // 000000003EAC: 0A7E7F10
	ds_read_b64_tr_b16 a[164:165], v15 offset:2048             // 000000003EB0: DBC60800 A400000F
	ds_read_b64_tr_b16 a[166:167], v15 offset:2304             // 000000003EB8: DBC60900 A600000F
	v_mfma_f32_16x16x32_bf16 v[38:41], a[100:103], a[28:31], v[38:41]// 000000003EC0: D3B50026 1C9A3964
	buffer_load_dwordx4 v32, s[20:23], 0 offen offset:384 lds  // 000000003EC8: E05D1180 80050020
	s_add_i32 m0, m0, 0x3c0                                    // 000000003ED0: 817CFF7C 000003C0
	v_mfma_f32_16x16x32_bf16 v[38:41], a[104:107], a[32:35], v[38:41]// 000000003ED8: D3B50026 1C9A4168
	v_mul_f32_e32 v64, v16, v64                                // 000000003EE0: 0A808110
	v_mul_f32_e32 v65, v16, v65                                // 000000003EE4: 0A828310
	ds_read_b64_tr_b16 a[168:169], v14 offset:3072             // 000000003EE8: DBC60C00 A800000E
	ds_read_b64_tr_b16 a[170:171], v14 offset:3328             // 000000003EF0: DBC60D00 AA00000E
	v_mfma_f32_16x16x32_bf16 v[38:41], a[108:111], a[36:39], v[38:41]// 000000003EF8: D3B50026 1C9A496C
	v_mul_f32_e32 v66, v16, v66                                // 000000003F00: 0A848510
	v_mul_f32_e32 v67, v16, v67                                // 000000003F04: 0A868710
	ds_read_b64_tr_b16 a[172:173], v15 offset:3072             // 000000003F08: DBC60C00 AC00000F
	ds_read_b64_tr_b16 a[174:175], v15 offset:3328             // 000000003F10: DBC60D00 AE00000F
	v_mfma_f32_16x16x32_bf16 v[38:41], a[112:115], a[40:43], v[38:41]// 000000003F18: D3B50026 1C9A5170
	v_mul_f32_e32 v68, v16, v68                                // 000000003F20: 0A888910
	v_mul_f32_e32 v69, v16, v69                                // 000000003F24: 0A8A8B10
	ds_read_b64_tr_b16 a[176:177], v14 offset:4096             // 000000003F28: DBC61000 B000000E
	ds_read_b64_tr_b16 a[178:179], v14 offset:4352             // 000000003F30: DBC61100 B200000E
	v_mfma_f32_16x16x32_bf16 v[38:41], a[116:119], a[44:47], v[38:41]// 000000003F38: D3B50026 1C9A5974
	buffer_load_dwordx4 v32, s[20:23], 0 offen offset:448 lds  // 000000003F40: E05D11C0 80050020
	s_add_i32 m0, m0, 0x3c0                                    // 000000003F48: 817CFF7C 000003C0
	v_mul_f32_e32 v70, v16, v70                                // 000000003F50: 0A8C8D10
	v_mul_f32_e32 v71, v16, v71                                // 000000003F54: 0A8E8F10
	v_mfma_f32_16x16x32_bf16 v[38:41], a[120:123], a[48:51], v[38:41]// 000000003F58: D3B50026 1C9A6178
	v_mul_f32_e32 v72, v16, v72                                // 000000003F60: 0A909110
	v_mul_f32_e32 v73, v16, v73                                // 000000003F64: 0A929310
	ds_read_b64_tr_b16 a[180:181], v15 offset:4096             // 000000003F68: DBC61000 B400000F
	ds_read_b64_tr_b16 a[182:183], v15 offset:4352             // 000000003F70: DBC61100 B600000F
	v_mfma_f32_16x16x32_bf16 v[38:41], a[124:127], a[52:55], v[38:41]// 000000003F78: D3B50026 1C9A697C
	v_mul_f32_e32 v74, v16, v74                                // 000000003F80: 0A949510
	v_mul_f32_e32 v75, v16, v75                                // 000000003F84: 0A969710
	ds_read_b64_tr_b16 a[184:185], v14 offset:5120             // 000000003F88: DBC61400 B800000E
	ds_read_b64_tr_b16 a[186:187], v14 offset:5376             // 000000003F90: DBC61500 BA00000E
	v_mfma_f32_16x16x32_bf16 v[38:41], a[128:131], a[56:59], v[38:41]// 000000003F98: D3B50026 1C9A7180
	v_mul_f32_e32 v76, v16, v76                                // 000000003FA0: 0A989910
	v_mul_f32_e32 v77, v16, v77                                // 000000003FA4: 0A9A9B10
	ds_read_b64_tr_b16 a[188:189], v15 offset:5120             // 000000003FA8: DBC61400 BC00000F
	ds_read_b64_tr_b16 a[190:191], v15 offset:5376             // 000000003FB0: DBC61500 BE00000F
	v_mfma_f32_16x16x32_bf16 v[38:41], a[132:135], a[60:63], v[38:41]// 000000003FB8: D3B50026 1C9A7984
	buffer_load_dwordx4 v32, s[20:23], 0 offen offset:512 lds  // 000000003FC0: E05D1200 80050020
	s_add_i32 m0, m0, 0x3c0                                    // 000000003FC8: 817CFF7C 000003C0
	v_mfma_f32_16x16x32_bf16 v[38:41], a[136:139], a[64:67], v[38:41]// 000000003FD0: D3B50026 1C9A8188
	v_mul_f32_e32 v78, v16, v78                                // 000000003FD8: 0A9C9D10
	v_mul_f32_e32 v79, v16, v79                                // 000000003FDC: 0A9E9F10
	ds_read_b64_tr_b16 a[192:193], v14 offset:6144             // 000000003FE0: DBC61800 C000000E
	ds_read_b64_tr_b16 a[194:195], v14 offset:6400             // 000000003FE8: DBC61900 C200000E
	ds_read_b64_tr_b16 a[196:197], v15 offset:6144             // 000000003FF0: DBC61800 C400000F
	ds_read_b64_tr_b16 a[198:199], v15 offset:6400             // 000000003FF8: DBC61900 C600000F
	ds_read_b64_tr_b16 a[200:201], v14 offset:7168             // 000000004000: DBC61C00 C800000E
	ds_read_b64_tr_b16 a[202:203], v14 offset:7424             // 000000004008: DBC61D00 CA00000E
	ds_read_b64_tr_b16 a[204:205], v15 offset:7168             // 000000004010: DBC61C00 CC00000F
	ds_read_b64_tr_b16 a[206:207], v15 offset:7424             // 000000004018: DBC61D00 CE00000F
	v_mov_b32_e32 v30, v16                                     // 000000004020: 7E3C0310
	v_mov_b32_e32 v31, v16                                     // 000000004024: 7E3E0310
	v_pk_mul_f32 v[80:81], v[30:31], v[80:81]                  // 000000004028: D3B14050 1802A11E
	v_pk_mul_f32 v[82:83], v[30:31], v[82:83]                  // 000000004030: D3B14052 1802A51E
	v_pk_mul_f32 v[84:85], v[30:31], v[84:85]                  // 000000004038: D3B14054 1802A91E
	v_pk_mul_f32 v[86:87], v[30:31], v[86:87]                  // 000000004040: D3B14056 1802AD1E
	v_pk_mul_f32 v[88:89], v[30:31], v[88:89]                  // 000000004048: D3B14058 1802B11E
	v_pk_mul_f32 v[90:91], v[30:31], v[90:91]                  // 000000004050: D3B1405A 1802B51E
	v_pk_mul_f32 v[92:93], v[30:31], v[92:93]                  // 000000004058: D3B1405C 1802B91E
	v_pk_mul_f32 v[94:95], v[30:31], v[94:95]                  // 000000004060: D3B1405E 1802BD1E
	v_pk_mul_f32 v[96:97], v[30:31], v[96:97]                  // 000000004068: D3B14060 1802C11E
	v_pk_mul_f32 v[98:99], v[30:31], v[98:99]                  // 000000004070: D3B14062 1802C51E
	v_pk_mul_f32 v[100:101], v[30:31], v[100:101]              // 000000004078: D3B14064 1802C91E
	v_pk_mul_f32 v[102:103], v[30:31], v[102:103]              // 000000004080: D3B14066 1802CD1E
	v_pk_mul_f32 v[104:105], v[30:31], v[104:105]              // 000000004088: D3B14068 1802D11E
	v_pk_mul_f32 v[106:107], v[30:31], v[106:107]              // 000000004090: D3B1406A 1802D51E
	v_pk_mul_f32 v[108:109], v[30:31], v[108:109]              // 000000004098: D3B1406C 1802D91E
	v_pk_mul_f32 v[110:111], v[30:31], v[110:111]              // 0000000040A0: D3B1406E 1802DD1E
	v_pk_mul_f32 v[112:113], v[30:31], v[112:113]              // 0000000040A8: D3B14070 1802E11E
	v_pk_mul_f32 v[114:115], v[30:31], v[114:115]              // 0000000040B0: D3B14072 1802E51E
	v_pk_mul_f32 v[116:117], v[30:31], v[116:117]              // 0000000040B8: D3B14074 1802E91E
	v_pk_mul_f32 v[118:119], v[30:31], v[118:119]              // 0000000040C0: D3B14076 1802ED1E
	v_pk_mul_f32 v[120:121], v[30:31], v[120:121]              // 0000000040C8: D3B14078 1802F11E
	v_pk_mul_f32 v[122:123], v[30:31], v[122:123]              // 0000000040D0: D3B1407A 1802F51E
	v_pk_mul_f32 v[124:125], v[30:31], v[124:125]              // 0000000040D8: D3B1407C 1802F91E
	v_pk_mul_f32 v[126:127], v[30:31], v[126:127]              // 0000000040E0: D3B1407E 1802FD1E
	v_pk_mul_f32 v[128:129], v[30:31], v[128:129]              // 0000000040E8: D3B14080 1803011E
	v_pk_mul_f32 v[130:131], v[30:31], v[130:131]              // 0000000040F0: D3B14082 1803051E
	v_pk_mul_f32 v[132:133], v[30:31], v[132:133]              // 0000000040F8: D3B14084 1803091E
	v_pk_mul_f32 v[134:135], v[30:31], v[134:135]              // 000000004100: D3B14086 18030D1E
	v_pk_mul_f32 v[136:137], v[30:31], v[136:137]              // 000000004108: D3B14088 1803111E
	v_pk_mul_f32 v[138:139], v[30:31], v[138:139]              // 000000004110: D3B1408A 1803151E
	v_pk_mul_f32 v[140:141], v[30:31], v[140:141]              // 000000004118: D3B1408C 1803191E
	v_pk_mul_f32 v[142:143], v[30:31], v[142:143]              // 000000004120: D3B1408E 18031D1E
	v_pk_mul_f32 v[144:145], v[30:31], v[144:145]              // 000000004128: D3B14090 1803211E
	v_pk_mul_f32 v[146:147], v[30:31], v[146:147]              // 000000004130: D3B14092 1803251E
	v_pk_mul_f32 v[148:149], v[30:31], v[148:149]              // 000000004138: D3B14094 1803291E
	v_pk_mul_f32 v[150:151], v[30:31], v[150:151]              // 000000004140: D3B14096 18032D1E
	v_pk_mul_f32 v[152:153], v[30:31], v[152:153]              // 000000004148: D3B14098 1803311E
	v_pk_mul_f32 v[154:155], v[30:31], v[154:155]              // 000000004150: D3B1409A 1803351E
	v_pk_mul_f32 v[156:157], v[30:31], v[156:157]              // 000000004158: D3B1409C 1803391E
	v_pk_mul_f32 v[158:159], v[30:31], v[158:159]              // 000000004160: D3B1409E 18033D1E
	v_pk_mul_f32 v[160:161], v[30:31], v[160:161]              // 000000004168: D3B140A0 1803411E
	v_pk_mul_f32 v[162:163], v[30:31], v[162:163]              // 000000004170: D3B140A2 1803451E
	v_pk_mul_f32 v[164:165], v[30:31], v[164:165]              // 000000004178: D3B140A4 1803491E
	v_pk_mul_f32 v[166:167], v[30:31], v[166:167]              // 000000004180: D3B140A6 18034D1E
	v_pk_mul_f32 v[168:169], v[30:31], v[168:169]              // 000000004188: D3B140A8 1803511E
	v_pk_mul_f32 v[170:171], v[30:31], v[170:171]              // 000000004190: D3B140AA 1803551E
	v_pk_mul_f32 v[172:173], v[30:31], v[172:173]              // 000000004198: D3B140AC 1803591E
	v_pk_mul_f32 v[174:175], v[30:31], v[174:175]              // 0000000041A0: D3B140AE 18035D1E
	v_pk_mul_f32 v[176:177], v[30:31], v[176:177]              // 0000000041A8: D3B140B0 1803611E
	v_mfma_f32_16x16x32_bf16 v[38:41], a[140:143], a[68:71], v[38:41]// 0000000041B0: D3B50026 1C9A898C
	s_addk_i32 s70, 0x1                                        // 0000000041B8: B7460001
	s_cmp_lt_i32 s70, s71                                      // 0000000041BC: BF044746
	s_cbranch_scc0 label_3B18                                  // 0000000041C0: BF840715
	s_waitcnt lgkmcnt(0)                                       // 0000000041C4: BF8CC07F
	v_mul_u32_u24_e64 v32, v23, s68                            // 0000000041C8: D1080020 00008917
	v_add_u32_e32 v32, v32, v1                                 // 0000000041D0: 68400320
	v_mfma_f32_16x16x32_bf16 v[50:53], a[144:147], v[42:45], v[50:53]// 0000000041D4: D3B50032 0CCA5590
	v_mov_b32_e32 v29, v34                                     // 0000000041DC: 7E3A0322
	v_max3_f32 v29, v34, v35, v29                              // 0000000041E0: D1D3001D 04764722
	v_mfma_f32_16x16x32_bf16 v[54:57], a[148:151], v[42:45], v[54:57]// 0000000041E8: D3B50036 0CDA5594
	ds_read_b64_tr_b16 a[144:145], v14 offset:8192             // 0000000041F0: DBC62000 9000000E
	ds_read_b64_tr_b16 a[146:147], v14 offset:8448             // 0000000041F8: DBC62100 9200000E
	v_mfma_f32_16x16x32_bf16 v[58:61], a[152:155], v[42:45], v[58:61]// 000000004200: D3B5003A 0CEA5598
	v_max3_f32 v29, v36, v37, v29                              // 000000004208: D1D3001D 04764B24
	v_max3_f32 v29, v38, v39, v29                              // 000000004210: D1D3001D 04764F26
	v_mfma_f32_16x16x32_bf16 v[62:65], a[156:159], v[42:45], v[62:65]// 000000004218: D3B5003E 0CFA559C
	ds_read_b64_tr_b16 a[148:149], v15 offset:8192             // 000000004220: DBC62000 9400000F
	ds_read_b64_tr_b16 a[150:151], v15 offset:8448             // 000000004228: DBC62100 9600000F
	v_mfma_f32_16x16x32_bf16 v[66:69], a[160:163], v[42:45], v[66:69]// 000000004230: D3B50042 0D0A55A0
	v_max3_f32 v29, v40, v41, v29                              // 000000004238: D1D3001D 04765328
	v_mov_b32_e32 v28, v29                                     // 000000004240: 7E38031D
	v_mfma_f32_16x16x32_bf16 v[70:73], a[164:167], v[42:45], v[70:73]// 000000004244: D3B50046 0D1A55A4
	ds_read_b64_tr_b16 a[152:153], v14 offset:9216             // 00000000424C: DBC62400 9800000E
	ds_read_b64_tr_b16 a[154:155], v14 offset:9472             // 000000004254: DBC62500 9A00000E
	v_mfma_f32_16x16x32_bf16 v[74:77], a[168:171], v[42:45], v[74:77]// 00000000425C: D3B5004A 0D2A55A8
	v_mov_b32_e32 v29, v29                                     // 000000004264: 7E3A031D
	s_nop 1                                                    // 000000004268: BF800001
	v_mfma_f32_16x16x32_bf16 v[78:81], a[172:175], v[42:45], v[78:81]// 00000000426C: D3B5004E 0D3A55AC
	ds_read_b64_tr_b16 a[156:157], v15 offset:9216             // 000000004274: DBC62400 9C00000F
	ds_read_b64_tr_b16 a[158:159], v15 offset:9472             // 00000000427C: DBC62500 9E00000F
	v_mfma_f32_16x16x32_bf16 v[82:85], a[176:179], v[42:45], v[82:85]// 000000004284: D3B50052 0D4A55B0
	v_permlane16_swap_b32_e32 v28, v29                         // 00000000428C: 7E38B31D
	v_mfma_f32_16x16x32_bf16 v[86:89], a[180:183], v[42:45], v[86:89]// 000000004290: D3B50056 0D5A55B4
	ds_read_b64_tr_b16 a[160:161], v14 offset:10240            // 000000004298: DBC62800 A000000E
	ds_read_b64_tr_b16 a[162:163], v14 offset:10496            // 0000000042A0: DBC62900 A200000E
	v_mfma_f32_16x16x32_bf16 v[90:93], a[184:187], v[42:45], v[90:93]// 0000000042A8: D3B5005A 0D6A55B8
	v_mov_b32_e32 v31, v28                                     // 0000000042B0: 7E3E031C
	v_mov_b32_e32 v30, v29                                     // 0000000042B4: 7E3C031D
	v_mfma_f32_16x16x32_bf16 v[94:97], a[188:191], v[42:45], v[94:97]// 0000000042B8: D3B5005E 0D7A55BC
	ds_read_b64_tr_b16 a[164:165], v15 offset:10240            // 0000000042C0: DBC62800 A400000F
	ds_read_b64_tr_b16 a[166:167], v15 offset:10496            // 0000000042C8: DBC62900 A600000F
	v_mfma_f32_16x16x32_bf16 v[98:101], a[192:195], v[42:45], v[98:101]// 0000000042D0: D3B50062 0D8A55C0
	s_nop 1                                                    // 0000000042D8: BF800001
	v_permlane32_swap_b32_e32 v28, v29                         // 0000000042DC: 7E38B51D
	v_mfma_f32_16x16x32_bf16 v[102:105], a[196:199], v[42:45], v[102:105]// 0000000042E0: D3B50066 0D9A55C4
	ds_read_b64_tr_b16 a[168:169], v14 offset:11264            // 0000000042E8: DBC62C00 A800000E
	ds_read_b64_tr_b16 a[170:171], v14 offset:11520            // 0000000042F0: DBC62D00 AA00000E
	v_mfma_f32_16x16x32_bf16 v[106:109], a[200:203], v[42:45], v[106:109]// 0000000042F8: D3B5006A 0DAA55C8
	v_permlane32_swap_b32_e32 v30, v31                         // 000000004300: 7E3CB51F
	v_mfma_f32_16x16x32_bf16 v[110:113], a[204:207], v[42:45], v[110:113]// 000000004304: D3B5006E 0DBA55CC
	ds_read_b64_tr_b16 a[172:173], v15 offset:11264            // 00000000430C: DBC62C00 AC00000F
	ds_read_b64_tr_b16 a[174:175], v15 offset:11520            // 000000004314: DBC62D00 AE00000F
	ds_read_b64_tr_b16 a[176:177], v14 offset:12288            // 00000000431C: DBC63000 B000000E
	ds_read_b64_tr_b16 a[178:179], v14 offset:12544            // 000000004324: DBC63100 B200000E
	ds_read_b64_tr_b16 a[180:181], v15 offset:12288            // 00000000432C: DBC63000 B400000F
	ds_read_b64_tr_b16 a[182:183], v15 offset:12544            // 000000004334: DBC63100 B600000F
	ds_read_b64_tr_b16 a[184:185], v14 offset:13312            // 00000000433C: DBC63400 B800000E
	ds_read_b64_tr_b16 a[186:187], v14 offset:13568            // 000000004344: DBC63500 BA00000E
	ds_read_b64_tr_b16 a[188:189], v15 offset:13312            // 00000000434C: DBC63400 BC00000F
	ds_read_b64_tr_b16 a[190:191], v15 offset:13568            // 000000004354: DBC63500 BE00000F
	s_waitcnt lgkmcnt(0)                                       // 00000000435C: BF8CC07F
	v_mfma_f32_16x16x32_bf16 v[114:117], a[144:147], v[42:45], v[114:117]// 000000004360: D3B50072 0DCA5590
	ds_read_b64_tr_b16 a[192:193], v14 offset:14336            // 000000004368: DBC63800 C000000E
	ds_read_b64_tr_b16 a[194:195], v14 offset:14592            // 000000004370: DBC63900 C200000E
	v_mfma_f32_16x16x32_bf16 v[118:121], a[148:151], v[42:45], v[118:121]// 000000004378: D3B50076 0DDA5594
	s_waitcnt vmcnt(10)                                        // 000000004380: BF8C0F7A
	s_barrier                                                  // 000000004384: BF8A0000
	ds_read_b128 a[72:75], v19                                 // 000000004388: DBFE0000 48000013
	ds_read_b128 a[76:79], v19 offset:1024                     // 000000004390: DBFE0400 4C000013
	v_mfma_f32_16x16x32_bf16 v[122:125], a[152:155], v[42:45], v[122:125]// 000000004398: D3B5007A 0DEA5598
	ds_read_b64_tr_b16 a[196:197], v15 offset:14336            // 0000000043A0: DBC63800 C400000F
	ds_read_b64_tr_b16 a[198:199], v15 offset:14592            // 0000000043A8: DBC63900 C600000F
	v_mfma_f32_16x16x32_bf16 v[126:129], a[156:159], v[42:45], v[126:129]// 0000000043B0: D3B5007E 0DFA559C
	ds_read_b128 a[80:83], v19 offset:2048                     // 0000000043B8: DBFE0800 50000013
	ds_read_b128 a[84:87], v19 offset:3072                     // 0000000043C0: DBFE0C00 54000013
	v_mfma_f32_16x16x32_bf16 v[130:133], a[160:163], v[42:45], v[130:133]// 0000000043C8: D3B50082 0E0A55A0
	ds_read_b64_tr_b16 a[200:201], v14 offset:15360            // 0000000043D0: DBC63C00 C800000E
	ds_read_b64_tr_b16 a[202:203], v14 offset:15616            // 0000000043D8: DBC63D00 CA00000E
	v_mfma_f32_16x16x32_bf16 v[134:137], a[164:167], v[42:45], v[134:137]// 0000000043E0: D3B50086 0E1A55A4
	ds_read_b128 a[88:91], v19 offset:4096                     // 0000000043E8: DBFE1000 58000013
	ds_read_b128 a[92:95], v19 offset:5120                     // 0000000043F0: DBFE1400 5C000013
	v_mfma_f32_16x16x32_bf16 v[138:141], a[168:171], v[42:45], v[138:141]// 0000000043F8: D3B5008A 0E2A55A8
	ds_read_b64_tr_b16 a[204:205], v15 offset:15360            // 000000004400: DBC63C00 CC00000F
	ds_read_b64_tr_b16 a[206:207], v15 offset:15616            // 000000004408: DBC63D00 CE00000F
	v_mfma_f32_16x16x32_bf16 v[142:145], a[172:175], v[42:45], v[142:145]// 000000004410: D3B5008E 0E3A55AC
	ds_read_b128 a[96:99], v19 offset:6144                     // 000000004418: DBFE1800 60000013
	ds_read_b128 a[100:103], v19 offset:7168                   // 000000004420: DBFE1C00 64000013
	v_mfma_f32_16x16x32_bf16 v[146:149], a[176:179], v[42:45], v[146:149]// 000000004428: D3B50092 0E4A55B0
	v_max3_f32 v29, v28, v29, v29                              // 000000004430: D1D3001D 04763B1C
	v_max3_f32 v29, v30, v31, v29                              // 000000004438: D1D3001D 04763F1E
	v_mfma_f32_16x16x32_bf16 v[150:153], a[180:183], v[42:45], v[150:153]// 000000004440: D3B50096 0E5A55B4
	ds_read_b128 a[104:107], v19 offset:8192                   // 000000004448: DBFE2000 68000013
	ds_read_b128 a[108:111], v19 offset:9216                   // 000000004450: DBFE2400 6C000013
	v_mfma_f32_16x16x32_bf16 v[154:157], a[184:187], v[42:45], v[154:157]// 000000004458: D3B5009A 0E6A55B8
	v_mov_b32_e32 v28, 0xff800000                              // 000000004460: 7E3802FF FF800000
	v_cmp_eq_u32_e64 s[36:37], v28, v2                         // 000000004468: D0CA0024 0002051C
	v_mfma_f32_16x16x32_bf16 v[158:161], a[188:191], v[42:45], v[158:161]// 000000004470: D3B5009E 0E7A55BC
	ds_read_b128 a[112:115], v19 offset:10240                  // 000000004478: DBFE2800 70000013
	ds_read_b128 a[116:119], v19 offset:11264                  // 000000004480: DBFE2C00 74000013
	v_mfma_f32_16x16x32_bf16 v[162:165], a[192:195], v[42:45], v[162:165]// 000000004488: D3B500A2 0E8A55C0
	v_max_f32_e32 v29, v29, v2                                 // 000000004490: 163A051D
	v_sub_f32_e32 v16, v2, v29                                 // 000000004494: 04203B02
	v_mfma_f32_16x16x32_bf16 v[166:169], a[196:199], v[42:45], v[166:169]// 000000004498: D3B500A6 0E9A55C4
	ds_read_b128 a[120:123], v19 offset:12288                  // 0000000044A0: DBFE3000 78000013
	ds_read_b128 a[124:127], v19 offset:13312                  // 0000000044A8: DBFE3400 7C000013
	v_mfma_f32_16x16x32_bf16 v[170:173], a[200:203], v[42:45], v[170:173]// 0000000044B0: D3B500AA 0EAA55C8
	v_cndmask_b32_e64 v16, v16, 0, s[36:37]                    // 0000000044B8: D1000010 00910110
	v_mov_b32_e32 v2, v29                                      // 0000000044C0: 7E04031D
	v_mfma_f32_16x16x32_bf16 v[174:177], a[204:207], v[42:45], v[174:177]// 0000000044C4: D3B500AE 0EBA55CC
	ds_read_b128 a[128:131], v19 offset:14336                  // 0000000044CC: DBFE3800 80000013
	ds_read_b128 a[132:135], v19 offset:15360                  // 0000000044D4: DBFE3C00 84000013
	ds_read_b128 a[136:139], v19 offset:16384                  // 0000000044DC: DBFE4000 88000013
	ds_read_b128 a[140:143], v19 offset:17408                  // 0000000044E4: DBFE4400 8C000013
	s_waitcnt lgkmcnt(0)                                       // 0000000044EC: BF8CC07F
	v_mfma_f32_16x16x32_bf16 v[42:45], a[72:75], a[0:3], 0     // 0000000044F0: D3B5002A 1A020148
	buffer_load_dword v25, v26, s[24:27], 0 offen              // 0000000044F8: E0501000 8006191A
	v_mul_f32_e32 v29, s5, v29                                 // 000000004500: 0A3A3A05
	s_mov_b32 s56, 0x1d000                                     // 000000004504: BEB800FF 0001D000
	s_mul_i32 s57, s7, 0x2400                                  // 00000000450C: 9239FF07 00002400
	s_add_u32 m0, s56, s57                                     // 000000004514: 807C3938
	buffer_load_dwordx4 v32, s[20:23], 0 offen lds             // 000000004518: E05D1000 80050020
	s_add_i32 m0, m0, 0x3c0                                    // 000000004520: 817CFF7C 000003C0
	v_mfma_f32_16x16x32_bf16 v[42:45], a[76:79], a[4:7], v[42:45]// 000000004528: D3B5002A 1CAA094C
	buffer_load_dwordx4 v32, s[20:23], 0 offen offset:64 lds   // 000000004530: E05D1040 80050020
	s_add_i32 m0, m0, 0x3c0                                    // 000000004538: 817CFF7C 000003C0
	v_mfma_f32_16x16x32_bf16 v[42:45], a[80:83], a[8:11], v[42:45]// 000000004540: D3B5002A 1CAA1150
	v_mul_f32_e32 v16, s5, v16                                 // 000000004548: 0A202005
	v_exp_f32_e32 v16, v16                                     // 00000000454C: 7E204110
	v_mfma_f32_16x16x32_bf16 v[42:45], a[84:87], a[12:15], v[42:45]// 000000004550: D3B5002A 1CAA1954
	v_add_u32_e32 v26, s73, v26                                // 000000004558: 68343449
	ds_read_b128 a[72:75], v19 offset:18432                    // 00000000455C: DBFE4800 48000013
	ds_read_b128 a[76:79], v19 offset:19456                    // 000000004564: DBFE4C00 4C000013
	v_fma_f32 v34, v34, s5, -v29                               // 00000000456C: D1CB0022 84740B22
	v_mfma_f32_16x16x32_bf16 v[42:45], a[88:91], a[16:19], v[42:45]// 000000004574: D3B5002A 1CAA2158
	ds_read_b128 a[80:83], v19 offset:20480                    // 00000000457C: DBFE5000 50000013
	ds_read_b128 a[84:87], v19 offset:21504                    // 000000004584: DBFE5400 54000013
	v_fma_f32 v35, v35, s5, -v29                               // 00000000458C: D1CB0023 84740B23
	v_mfma_f32_16x16x32_bf16 v[42:45], a[92:95], a[20:23], v[42:45]// 000000004594: D3B5002A 1CAA295C
	buffer_load_dwordx4 v32, s[20:23], 0 offen offset:128 lds  // 00000000459C: E05D1080 80050020
	s_add_i32 m0, m0, 0x3c0                                    // 0000000045A4: 817CFF7C 000003C0
	v_mfma_f32_16x16x32_bf16 v[42:45], a[96:99], a[24:27], v[42:45]// 0000000045AC: D3B5002A 1CAA3160
	v_fma_f32 v36, v36, s5, -v29                               // 0000000045B4: D1CB0024 84740B24
	v_fma_f32 v37, v37, s5, -v29                               // 0000000045BC: D1CB0025 84740B25
	v_mfma_f32_16x16x32_bf16 v[42:45], a[100:103], a[28:31], v[42:45]// 0000000045C4: D3B5002A 1CAA3964
	ds_read_b128 a[88:91], v19 offset:22528                    // 0000000045CC: DBFE5800 58000013
	ds_read_b128 a[92:95], v19 offset:23552                    // 0000000045D4: DBFE5C00 5C000013
	v_fma_f32 v38, v38, s5, -v29                               // 0000000045DC: D1CB0026 84740B26
	v_mfma_f32_16x16x32_bf16 v[42:45], a[104:107], a[32:35], v[42:45]// 0000000045E4: D3B5002A 1CAA4168
	ds_read_b128 a[96:99], v19 offset:24576                    // 0000000045EC: DBFE6000 60000013
	ds_read_b128 a[100:103], v19 offset:25600                  // 0000000045F4: DBFE6400 64000013
	v_fma_f32 v39, v39, s5, -v29                               // 0000000045FC: D1CB0027 84740B27
	v_mfma_f32_16x16x32_bf16 v[42:45], a[108:111], a[36:39], v[42:45]// 000000004604: D3B5002A 1CAA496C
	buffer_load_dwordx4 v32, s[20:23], 0 offen offset:192 lds  // 00000000460C: E05D10C0 80050020
	s_add_i32 m0, m0, 0x3c0                                    // 000000004614: 817CFF7C 000003C0
	v_mfma_f32_16x16x32_bf16 v[42:45], a[112:115], a[40:43], v[42:45]// 00000000461C: D3B5002A 1CAA5170
	v_fma_f32 v40, v40, s5, -v29                               // 000000004624: D1CB0028 84740B28
	v_fma_f32 v41, v41, s5, -v29                               // 00000000462C: D1CB0029 84740B29
	v_mfma_f32_16x16x32_bf16 v[42:45], a[116:119], a[44:47], v[42:45]// 000000004634: D3B5002A 1CAA5974
	v_exp_f32_e32 v34, v34                                     // 00000000463C: 7E444122
	v_mfma_f32_16x16x32_bf16 v[42:45], a[120:123], a[48:51], v[42:45]// 000000004640: D3B5002A 1CAA6178
	ds_read_b128 a[104:107], v19 offset:26624                  // 000000004648: DBFE6800 68000013
	ds_read_b128 a[108:111], v19 offset:27648                  // 000000004650: DBFE6C00 6C000013
	v_exp_f32_e32 v35, v35                                     // 000000004658: 7E464123
	v_mfma_f32_16x16x32_bf16 v[42:45], a[124:127], a[52:55], v[42:45]// 00000000465C: D3B5002A 1CAA697C
	buffer_load_dwordx4 v32, s[20:23], 0 offen offset:256 lds  // 000000004664: E05D1100 80050020
	s_add_i32 m0, m0, 0x3c0                                    // 00000000466C: 817CFF7C 000003C0
	v_mfma_f32_16x16x32_bf16 v[42:45], a[128:131], a[56:59], v[42:45]// 000000004674: D3B5002A 1CAA7180
	v_exp_f32_e32 v36, v36                                     // 00000000467C: 7E484124
	v_mfma_f32_16x16x32_bf16 v[42:45], a[132:135], a[60:63], v[42:45]// 000000004680: D3B5002A 1CAA7984
	ds_read_b128 a[112:115], v19 offset:28672                  // 000000004688: DBFE7000 70000013
	ds_read_b128 a[116:119], v19 offset:29696                  // 000000004690: DBFE7400 74000013
	v_exp_f32_e32 v37, v37                                     // 000000004698: 7E4A4125
	v_mfma_f32_16x16x32_bf16 v[42:45], a[136:139], a[64:67], v[42:45]// 00000000469C: D3B5002A 1CAA8188
	ds_read_b128 a[120:123], v19 offset:30720                  // 0000000046A4: DBFE7800 78000013
	ds_read_b128 a[124:127], v19 offset:31744                  // 0000000046AC: DBFE7C00 7C000013
	v_exp_f32_e32 v38, v38                                     // 0000000046B4: 7E4C4126
	v_mfma_f32_16x16x32_bf16 v[42:45], a[140:143], a[68:71], v[42:45]// 0000000046B8: D3B5002A 1CAA898C
	ds_read_b128 a[128:131], v19 offset:32768                  // 0000000046C0: DBFE8000 80000013
	ds_read_b128 a[132:135], v19 offset:33792                  // 0000000046C8: DBFE8400 84000013
	v_exp_f32_e32 v39, v39                                     // 0000000046D0: 7E4E4127
	ds_read_b128 a[136:139], v19 offset:34816                  // 0000000046D4: DBFE8800 88000013
	ds_read_b128 a[140:143], v19 offset:35840                  // 0000000046DC: DBFE8C00 8C000013
	v_exp_f32_e32 v40, v40                                     // 0000000046E4: 7E504128
	v_exp_f32_e32 v41, v41                                     // 0000000046E8: 7E524129
	v_mul_f32_e32 v4, v16, v4                                  // 0000000046EC: 0A080910
	v_mov_b32_e32 v28, v34                                     // 0000000046F0: 7E380322
	v_add_f32_e32 v28, v35, v28                                // 0000000046F4: 02383923
	v_add_f32_e32 v28, v36, v28                                // 0000000046F8: 02383924
	v_add_f32_e32 v28, v37, v28                                // 0000000046FC: 02383925
	v_add_f32_e32 v28, v38, v28                                // 000000004700: 02383926
	v_add_f32_e32 v28, v39, v28                                // 000000004704: 02383927
	;; [unrolled: 1-line block ×3, first 2 shown]
	v_add_f32_e32 v28, v41, v28                                // 00000000470C: 02383929
	v_add_f32_e32 v4, v28, v4                                  // 000000004710: 0208091C
	v_cvt_pk_bf16_f32 v34, v34, v35                            // 000000004714: D2680022 00024722
	v_cvt_pk_bf16_f32 v35, v36, v37                            // 00000000471C: D2680023 00024B24
	v_cvt_pk_bf16_f32 v36, v38, v39                            // 000000004724: D2680024 00024F26
	v_cvt_pk_bf16_f32 v37, v40, v41                            // 00000000472C: D2680025 00025328
	s_nop 0                                                    // 000000004734: BF800000
	v_permlane32_swap_b32_e32 v34, v36                         // 000000004738: 7E44B524
	v_permlane32_swap_b32_e32 v35, v37                         // 00000000473C: 7E46B525
	s_nop 0                                                    // 000000004740: BF800000
	v_permlane16_swap_b32_e32 v34, v36                         // 000000004744: 7E44B324
	v_permlane16_swap_b32_e32 v35, v37                         // 000000004748: 7E46B325
	s_waitcnt lgkmcnt(0)                                       // 00000000474C: BF8CC07F
	v_mfma_f32_16x16x32_bf16 v[46:49], a[72:75], a[0:3], 0     // 000000004750: D3B5002E 1A020148
	v_mul_f32_e32 v50, v16, v50                                // 000000004758: 0A646510
	v_mul_f32_e32 v51, v16, v51                                // 00000000475C: 0A666710
	ds_read_b64_tr_b16 a[144:145], v8                          // 000000004760: DBC60000 90000008
	ds_read_b64_tr_b16 a[146:147], v8 offset:256               // 000000004768: DBC60100 92000008
	v_mfma_f32_16x16x32_bf16 v[46:49], a[76:79], a[4:7], v[46:49]// 000000004770: D3B5002E 1CBA094C
	buffer_load_dwordx4 v32, s[20:23], 0 offen offset:320 lds  // 000000004778: E05D1140 80050020
	s_add_i32 m0, m0, 0x3c0                                    // 000000004780: 817CFF7C 000003C0
	v_mul_f32_e32 v52, v16, v52                                // 000000004788: 0A686910
	v_mul_f32_e32 v53, v16, v53                                // 00000000478C: 0A6A6B10
	v_mfma_f32_16x16x32_bf16 v[46:49], a[80:83], a[8:11], v[46:49]// 000000004790: D3B5002E 1CBA1150
	v_mul_f32_e32 v54, v16, v54                                // 000000004798: 0A6C6D10
	v_mul_f32_e32 v55, v16, v55                                // 00000000479C: 0A6E6F10
	ds_read_b64_tr_b16 a[148:149], v9                          // 0000000047A0: DBC60000 94000009
	ds_read_b64_tr_b16 a[150:151], v9 offset:256               // 0000000047A8: DBC60100 96000009
	v_mfma_f32_16x16x32_bf16 v[46:49], a[84:87], a[12:15], v[46:49]// 0000000047B0: D3B5002E 1CBA1954
	v_mul_f32_e32 v56, v16, v56                                // 0000000047B8: 0A707110
	v_mul_f32_e32 v57, v16, v57                                // 0000000047BC: 0A727310
	ds_read_b64_tr_b16 a[152:153], v8 offset:1024              // 0000000047C0: DBC60400 98000008
	ds_read_b64_tr_b16 a[154:155], v8 offset:1280              // 0000000047C8: DBC60500 9A000008
	v_mfma_f32_16x16x32_bf16 v[46:49], a[88:91], a[16:19], v[46:49]// 0000000047D0: D3B5002E 1CBA2158
	v_mul_f32_e32 v58, v16, v58                                // 0000000047D8: 0A747510
	v_mul_f32_e32 v59, v16, v59                                // 0000000047DC: 0A767710
	ds_read_b64_tr_b16 a[156:157], v9 offset:1024              // 0000000047E0: DBC60400 9C000009
	ds_read_b64_tr_b16 a[158:159], v9 offset:1280              // 0000000047E8: DBC60500 9E000009
	v_mfma_f32_16x16x32_bf16 v[46:49], a[92:95], a[20:23], v[46:49]// 0000000047F0: D3B5002E 1CBA295C
	v_mul_f32_e32 v60, v16, v60                                // 0000000047F8: 0A787910
	v_mul_f32_e32 v61, v16, v61                                // 0000000047FC: 0A7A7B10
	ds_read_b64_tr_b16 a[160:161], v8 offset:2048              // 000000004800: DBC60800 A0000008
	ds_read_b64_tr_b16 a[162:163], v8 offset:2304              // 000000004808: DBC60900 A2000008
	v_mfma_f32_16x16x32_bf16 v[46:49], a[96:99], a[24:27], v[46:49]// 000000004810: D3B5002E 1CBA3160
	v_mul_f32_e32 v62, v16, v62                                // 000000004818: 0A7C7D10
	v_mul_f32_e32 v63, v16, v63                                // 00000000481C: 0A7E7F10
	ds_read_b64_tr_b16 a[164:165], v9 offset:2048              // 000000004820: DBC60800 A4000009
	ds_read_b64_tr_b16 a[166:167], v9 offset:2304              // 000000004828: DBC60900 A6000009
	v_mfma_f32_16x16x32_bf16 v[46:49], a[100:103], a[28:31], v[46:49]// 000000004830: D3B5002E 1CBA3964
	buffer_load_dwordx4 v32, s[20:23], 0 offen offset:384 lds  // 000000004838: E05D1180 80050020
	s_add_i32 m0, m0, 0x3c0                                    // 000000004840: 817CFF7C 000003C0
	v_mfma_f32_16x16x32_bf16 v[46:49], a[104:107], a[32:35], v[46:49]// 000000004848: D3B5002E 1CBA4168
	v_mul_f32_e32 v64, v16, v64                                // 000000004850: 0A808110
	v_mul_f32_e32 v65, v16, v65                                // 000000004854: 0A828310
	ds_read_b64_tr_b16 a[168:169], v8 offset:3072              // 000000004858: DBC60C00 A8000008
	ds_read_b64_tr_b16 a[170:171], v8 offset:3328              // 000000004860: DBC60D00 AA000008
	v_mfma_f32_16x16x32_bf16 v[46:49], a[108:111], a[36:39], v[46:49]// 000000004868: D3B5002E 1CBA496C
	v_mul_f32_e32 v66, v16, v66                                // 000000004870: 0A848510
	v_mul_f32_e32 v67, v16, v67                                // 000000004874: 0A868710
	ds_read_b64_tr_b16 a[172:173], v9 offset:3072              // 000000004878: DBC60C00 AC000009
	ds_read_b64_tr_b16 a[174:175], v9 offset:3328              // 000000004880: DBC60D00 AE000009
	v_mfma_f32_16x16x32_bf16 v[46:49], a[112:115], a[40:43], v[46:49]// 000000004888: D3B5002E 1CBA5170
	v_mul_f32_e32 v68, v16, v68                                // 000000004890: 0A888910
	v_mul_f32_e32 v69, v16, v69                                // 000000004894: 0A8A8B10
	ds_read_b64_tr_b16 a[176:177], v8 offset:4096              // 000000004898: DBC61000 B0000008
	ds_read_b64_tr_b16 a[178:179], v8 offset:4352              // 0000000048A0: DBC61100 B2000008
	v_mfma_f32_16x16x32_bf16 v[46:49], a[116:119], a[44:47], v[46:49]// 0000000048A8: D3B5002E 1CBA5974
	buffer_load_dwordx4 v32, s[20:23], 0 offen offset:448 lds  // 0000000048B0: E05D11C0 80050020
	s_add_i32 m0, m0, 0x3c0                                    // 0000000048B8: 817CFF7C 000003C0
	v_mul_f32_e32 v70, v16, v70                                // 0000000048C0: 0A8C8D10
	v_mul_f32_e32 v71, v16, v71                                // 0000000048C4: 0A8E8F10
	v_mfma_f32_16x16x32_bf16 v[46:49], a[120:123], a[48:51], v[46:49]// 0000000048C8: D3B5002E 1CBA6178
	v_mul_f32_e32 v72, v16, v72                                // 0000000048D0: 0A909110
	v_mul_f32_e32 v73, v16, v73                                // 0000000048D4: 0A929310
	ds_read_b64_tr_b16 a[180:181], v9 offset:4096              // 0000000048D8: DBC61000 B4000009
	ds_read_b64_tr_b16 a[182:183], v9 offset:4352              // 0000000048E0: DBC61100 B6000009
	v_mfma_f32_16x16x32_bf16 v[46:49], a[124:127], a[52:55], v[46:49]// 0000000048E8: D3B5002E 1CBA697C
	v_mul_f32_e32 v74, v16, v74                                // 0000000048F0: 0A949510
	v_mul_f32_e32 v75, v16, v75                                // 0000000048F4: 0A969710
	ds_read_b64_tr_b16 a[184:185], v8 offset:5120              // 0000000048F8: DBC61400 B8000008
	ds_read_b64_tr_b16 a[186:187], v8 offset:5376              // 000000004900: DBC61500 BA000008
	v_mfma_f32_16x16x32_bf16 v[46:49], a[128:131], a[56:59], v[46:49]// 000000004908: D3B5002E 1CBA7180
	v_mul_f32_e32 v76, v16, v76                                // 000000004910: 0A989910
	v_mul_f32_e32 v77, v16, v77                                // 000000004914: 0A9A9B10
	ds_read_b64_tr_b16 a[188:189], v9 offset:5120              // 000000004918: DBC61400 BC000009
	ds_read_b64_tr_b16 a[190:191], v9 offset:5376              // 000000004920: DBC61500 BE000009
	v_mfma_f32_16x16x32_bf16 v[46:49], a[132:135], a[60:63], v[46:49]// 000000004928: D3B5002E 1CBA7984
	buffer_load_dwordx4 v32, s[20:23], 0 offen offset:512 lds  // 000000004930: E05D1200 80050020
	s_add_i32 m0, m0, 0x3c0                                    // 000000004938: 817CFF7C 000003C0
	v_mfma_f32_16x16x32_bf16 v[46:49], a[136:139], a[64:67], v[46:49]// 000000004940: D3B5002E 1CBA8188
	v_mul_f32_e32 v78, v16, v78                                // 000000004948: 0A9C9D10
	v_mul_f32_e32 v79, v16, v79                                // 00000000494C: 0A9E9F10
	ds_read_b64_tr_b16 a[192:193], v8 offset:6144              // 000000004950: DBC61800 C0000008
	ds_read_b64_tr_b16 a[194:195], v8 offset:6400              // 000000004958: DBC61900 C2000008
	ds_read_b64_tr_b16 a[196:197], v9 offset:6144              // 000000004960: DBC61800 C4000009
	ds_read_b64_tr_b16 a[198:199], v9 offset:6400              // 000000004968: DBC61900 C6000009
	ds_read_b64_tr_b16 a[200:201], v8 offset:7168              // 000000004970: DBC61C00 C8000008
	ds_read_b64_tr_b16 a[202:203], v8 offset:7424              // 000000004978: DBC61D00 CA000008
	ds_read_b64_tr_b16 a[204:205], v9 offset:7168              // 000000004980: DBC61C00 CC000009
	ds_read_b64_tr_b16 a[206:207], v9 offset:7424              // 000000004988: DBC61D00 CE000009
	v_mov_b32_e32 v30, v16                                     // 000000004990: 7E3C0310
	v_mov_b32_e32 v31, v16                                     // 000000004994: 7E3E0310
	v_pk_mul_f32 v[80:81], v[30:31], v[80:81]                  // 000000004998: D3B14050 1802A11E
	v_pk_mul_f32 v[82:83], v[30:31], v[82:83]                  // 0000000049A0: D3B14052 1802A51E
	v_pk_mul_f32 v[84:85], v[30:31], v[84:85]                  // 0000000049A8: D3B14054 1802A91E
	v_pk_mul_f32 v[86:87], v[30:31], v[86:87]                  // 0000000049B0: D3B14056 1802AD1E
	v_pk_mul_f32 v[88:89], v[30:31], v[88:89]                  // 0000000049B8: D3B14058 1802B11E
	v_pk_mul_f32 v[90:91], v[30:31], v[90:91]                  // 0000000049C0: D3B1405A 1802B51E
	v_pk_mul_f32 v[92:93], v[30:31], v[92:93]                  // 0000000049C8: D3B1405C 1802B91E
	v_pk_mul_f32 v[94:95], v[30:31], v[94:95]                  // 0000000049D0: D3B1405E 1802BD1E
	v_pk_mul_f32 v[96:97], v[30:31], v[96:97]                  // 0000000049D8: D3B14060 1802C11E
	v_pk_mul_f32 v[98:99], v[30:31], v[98:99]                  // 0000000049E0: D3B14062 1802C51E
	v_pk_mul_f32 v[100:101], v[30:31], v[100:101]              // 0000000049E8: D3B14064 1802C91E
	v_pk_mul_f32 v[102:103], v[30:31], v[102:103]              // 0000000049F0: D3B14066 1802CD1E
	v_pk_mul_f32 v[104:105], v[30:31], v[104:105]              // 0000000049F8: D3B14068 1802D11E
	v_pk_mul_f32 v[106:107], v[30:31], v[106:107]              // 000000004A00: D3B1406A 1802D51E
	v_pk_mul_f32 v[108:109], v[30:31], v[108:109]              // 000000004A08: D3B1406C 1802D91E
	v_pk_mul_f32 v[110:111], v[30:31], v[110:111]              // 000000004A10: D3B1406E 1802DD1E
	v_pk_mul_f32 v[112:113], v[30:31], v[112:113]              // 000000004A18: D3B14070 1802E11E
	v_pk_mul_f32 v[114:115], v[30:31], v[114:115]              // 000000004A20: D3B14072 1802E51E
	v_pk_mul_f32 v[116:117], v[30:31], v[116:117]              // 000000004A28: D3B14074 1802E91E
	v_pk_mul_f32 v[118:119], v[30:31], v[118:119]              // 000000004A30: D3B14076 1802ED1E
	v_pk_mul_f32 v[120:121], v[30:31], v[120:121]              // 000000004A38: D3B14078 1802F11E
	v_pk_mul_f32 v[122:123], v[30:31], v[122:123]              // 000000004A40: D3B1407A 1802F51E
	v_pk_mul_f32 v[124:125], v[30:31], v[124:125]              // 000000004A48: D3B1407C 1802F91E
	v_pk_mul_f32 v[126:127], v[30:31], v[126:127]              // 000000004A50: D3B1407E 1802FD1E
	v_pk_mul_f32 v[128:129], v[30:31], v[128:129]              // 000000004A58: D3B14080 1803011E
	v_pk_mul_f32 v[130:131], v[30:31], v[130:131]              // 000000004A60: D3B14082 1803051E
	v_pk_mul_f32 v[132:133], v[30:31], v[132:133]              // 000000004A68: D3B14084 1803091E
	v_pk_mul_f32 v[134:135], v[30:31], v[134:135]              // 000000004A70: D3B14086 18030D1E
	v_pk_mul_f32 v[136:137], v[30:31], v[136:137]              // 000000004A78: D3B14088 1803111E
	v_pk_mul_f32 v[138:139], v[30:31], v[138:139]              // 000000004A80: D3B1408A 1803151E
	v_pk_mul_f32 v[140:141], v[30:31], v[140:141]              // 000000004A88: D3B1408C 1803191E
	v_pk_mul_f32 v[142:143], v[30:31], v[142:143]              // 000000004A90: D3B1408E 18031D1E
	v_pk_mul_f32 v[144:145], v[30:31], v[144:145]              // 000000004A98: D3B14090 1803211E
	v_pk_mul_f32 v[146:147], v[30:31], v[146:147]              // 000000004AA0: D3B14092 1803251E
	v_pk_mul_f32 v[148:149], v[30:31], v[148:149]              // 000000004AA8: D3B14094 1803291E
	v_pk_mul_f32 v[150:151], v[30:31], v[150:151]              // 000000004AB0: D3B14096 18032D1E
	v_pk_mul_f32 v[152:153], v[30:31], v[152:153]              // 000000004AB8: D3B14098 1803311E
	v_pk_mul_f32 v[154:155], v[30:31], v[154:155]              // 000000004AC0: D3B1409A 1803351E
	v_pk_mul_f32 v[156:157], v[30:31], v[156:157]              // 000000004AC8: D3B1409C 1803391E
	v_pk_mul_f32 v[158:159], v[30:31], v[158:159]              // 000000004AD0: D3B1409E 18033D1E
	v_pk_mul_f32 v[160:161], v[30:31], v[160:161]              // 000000004AD8: D3B140A0 1803411E
	v_pk_mul_f32 v[162:163], v[30:31], v[162:163]              // 000000004AE0: D3B140A2 1803451E
	v_pk_mul_f32 v[164:165], v[30:31], v[164:165]              // 000000004AE8: D3B140A4 1803491E
	v_pk_mul_f32 v[166:167], v[30:31], v[166:167]              // 000000004AF0: D3B140A6 18034D1E
	v_pk_mul_f32 v[168:169], v[30:31], v[168:169]              // 000000004AF8: D3B140A8 1803511E
	v_pk_mul_f32 v[170:171], v[30:31], v[170:171]              // 000000004B00: D3B140AA 1803551E
	v_pk_mul_f32 v[172:173], v[30:31], v[172:173]              // 000000004B08: D3B140AC 1803591E
	v_pk_mul_f32 v[174:175], v[30:31], v[174:175]              // 000000004B10: D3B140AE 18035D1E
	v_pk_mul_f32 v[176:177], v[30:31], v[176:177]              // 000000004B18: D3B140B0 1803611E
	v_mfma_f32_16x16x32_bf16 v[46:49], a[140:143], a[68:71], v[46:49]// 000000004B20: D3B5002E 1CBA898C
	s_addk_i32 s70, 0x1                                        // 000000004B28: B7460001
	s_cmp_lt_i32 s70, s71                                      // 000000004B2C: BF044746
	s_cbranch_scc0 label_3B18                                  // 000000004B30: BF8404B9
	s_waitcnt lgkmcnt(0)                                       // 000000004B34: BF8CC07F
	v_mul_u32_u24_e64 v32, v24, s68                            // 000000004B38: D1080020 00008918
	v_add_u32_e32 v32, v32, v1                                 // 000000004B40: 68400320
	v_mfma_f32_16x16x32_bf16 v[50:53], a[144:147], v[34:37], v[50:53]// 000000004B44: D3B50032 0CCA4590
	v_mov_b32_e32 v29, v42                                     // 000000004B4C: 7E3A032A
	v_max3_f32 v29, v42, v43, v29                              // 000000004B50: D1D3001D 0476572A
	v_mfma_f32_16x16x32_bf16 v[54:57], a[148:151], v[34:37], v[54:57]// 000000004B58: D3B50036 0CDA4594
	ds_read_b64_tr_b16 a[144:145], v8 offset:8192              // 000000004B60: DBC62000 90000008
	ds_read_b64_tr_b16 a[146:147], v8 offset:8448              // 000000004B68: DBC62100 92000008
	v_mfma_f32_16x16x32_bf16 v[58:61], a[152:155], v[34:37], v[58:61]// 000000004B70: D3B5003A 0CEA4598
	v_max3_f32 v29, v44, v45, v29                              // 000000004B78: D1D3001D 04765B2C
	v_max3_f32 v29, v46, v47, v29                              // 000000004B80: D1D3001D 04765F2E
	v_mfma_f32_16x16x32_bf16 v[62:65], a[156:159], v[34:37], v[62:65]// 000000004B88: D3B5003E 0CFA459C
	ds_read_b64_tr_b16 a[148:149], v9 offset:8192              // 000000004B90: DBC62000 94000009
	ds_read_b64_tr_b16 a[150:151], v9 offset:8448              // 000000004B98: DBC62100 96000009
	v_mfma_f32_16x16x32_bf16 v[66:69], a[160:163], v[34:37], v[66:69]// 000000004BA0: D3B50042 0D0A45A0
	v_max3_f32 v29, v48, v49, v29                              // 000000004BA8: D1D3001D 04766330
	v_mov_b32_e32 v28, v29                                     // 000000004BB0: 7E38031D
	v_mfma_f32_16x16x32_bf16 v[70:73], a[164:167], v[34:37], v[70:73]// 000000004BB4: D3B50046 0D1A45A4
	ds_read_b64_tr_b16 a[152:153], v8 offset:9216              // 000000004BBC: DBC62400 98000008
	ds_read_b64_tr_b16 a[154:155], v8 offset:9472              // 000000004BC4: DBC62500 9A000008
	v_mfma_f32_16x16x32_bf16 v[74:77], a[168:171], v[34:37], v[74:77]// 000000004BCC: D3B5004A 0D2A45A8
	v_mov_b32_e32 v29, v29                                     // 000000004BD4: 7E3A031D
	s_nop 1                                                    // 000000004BD8: BF800001
	v_mfma_f32_16x16x32_bf16 v[78:81], a[172:175], v[34:37], v[78:81]// 000000004BDC: D3B5004E 0D3A45AC
	ds_read_b64_tr_b16 a[156:157], v9 offset:9216              // 000000004BE4: DBC62400 9C000009
	ds_read_b64_tr_b16 a[158:159], v9 offset:9472              // 000000004BEC: DBC62500 9E000009
	v_mfma_f32_16x16x32_bf16 v[82:85], a[176:179], v[34:37], v[82:85]// 000000004BF4: D3B50052 0D4A45B0
	v_permlane16_swap_b32_e32 v28, v29                         // 000000004BFC: 7E38B31D
	v_mfma_f32_16x16x32_bf16 v[86:89], a[180:183], v[34:37], v[86:89]// 000000004C00: D3B50056 0D5A45B4
	ds_read_b64_tr_b16 a[160:161], v8 offset:10240             // 000000004C08: DBC62800 A0000008
	ds_read_b64_tr_b16 a[162:163], v8 offset:10496             // 000000004C10: DBC62900 A2000008
	v_mfma_f32_16x16x32_bf16 v[90:93], a[184:187], v[34:37], v[90:93]// 000000004C18: D3B5005A 0D6A45B8
	v_mov_b32_e32 v31, v28                                     // 000000004C20: 7E3E031C
	v_mov_b32_e32 v30, v29                                     // 000000004C24: 7E3C031D
	v_mfma_f32_16x16x32_bf16 v[94:97], a[188:191], v[34:37], v[94:97]// 000000004C28: D3B5005E 0D7A45BC
	ds_read_b64_tr_b16 a[164:165], v9 offset:10240             // 000000004C30: DBC62800 A4000009
	ds_read_b64_tr_b16 a[166:167], v9 offset:10496             // 000000004C38: DBC62900 A6000009
	v_mfma_f32_16x16x32_bf16 v[98:101], a[192:195], v[34:37], v[98:101]// 000000004C40: D3B50062 0D8A45C0
	s_nop 1                                                    // 000000004C48: BF800001
	v_permlane32_swap_b32_e32 v28, v29                         // 000000004C4C: 7E38B51D
	v_mfma_f32_16x16x32_bf16 v[102:105], a[196:199], v[34:37], v[102:105]// 000000004C50: D3B50066 0D9A45C4
	ds_read_b64_tr_b16 a[168:169], v8 offset:11264             // 000000004C58: DBC62C00 A8000008
	ds_read_b64_tr_b16 a[170:171], v8 offset:11520             // 000000004C60: DBC62D00 AA000008
	v_mfma_f32_16x16x32_bf16 v[106:109], a[200:203], v[34:37], v[106:109]// 000000004C68: D3B5006A 0DAA45C8
	v_permlane32_swap_b32_e32 v30, v31                         // 000000004C70: 7E3CB51F
	v_mfma_f32_16x16x32_bf16 v[110:113], a[204:207], v[34:37], v[110:113]// 000000004C74: D3B5006E 0DBA45CC
	ds_read_b64_tr_b16 a[172:173], v9 offset:11264             // 000000004C7C: DBC62C00 AC000009
	ds_read_b64_tr_b16 a[174:175], v9 offset:11520             // 000000004C84: DBC62D00 AE000009
	ds_read_b64_tr_b16 a[176:177], v8 offset:12288             // 000000004C8C: DBC63000 B0000008
	ds_read_b64_tr_b16 a[178:179], v8 offset:12544             // 000000004C94: DBC63100 B2000008
	ds_read_b64_tr_b16 a[180:181], v9 offset:12288             // 000000004C9C: DBC63000 B4000009
	ds_read_b64_tr_b16 a[182:183], v9 offset:12544             // 000000004CA4: DBC63100 B6000009
	ds_read_b64_tr_b16 a[184:185], v8 offset:13312             // 000000004CAC: DBC63400 B8000008
	ds_read_b64_tr_b16 a[186:187], v8 offset:13568             // 000000004CB4: DBC63500 BA000008
	ds_read_b64_tr_b16 a[188:189], v9 offset:13312             // 000000004CBC: DBC63400 BC000009
	ds_read_b64_tr_b16 a[190:191], v9 offset:13568             // 000000004CC4: DBC63500 BE000009
	s_waitcnt lgkmcnt(0)                                       // 000000004CCC: BF8CC07F
	v_mfma_f32_16x16x32_bf16 v[114:117], a[144:147], v[34:37], v[114:117]// 000000004CD0: D3B50072 0DCA4590
	ds_read_b64_tr_b16 a[192:193], v8 offset:14336             // 000000004CD8: DBC63800 C0000008
	ds_read_b64_tr_b16 a[194:195], v8 offset:14592             // 000000004CE0: DBC63900 C2000008
	v_mfma_f32_16x16x32_bf16 v[118:121], a[148:151], v[34:37], v[118:121]// 000000004CE8: D3B50076 0DDA4594
	s_waitcnt vmcnt(10)                                        // 000000004CF0: BF8C0F7A
	s_barrier                                                  // 000000004CF4: BF8A0000
	ds_read_b128 a[72:75], v20                                 // 000000004CF8: DBFE0000 48000014
	ds_read_b128 a[76:79], v20 offset:1024                     // 000000004D00: DBFE0400 4C000014
	v_mfma_f32_16x16x32_bf16 v[122:125], a[152:155], v[34:37], v[122:125]// 000000004D08: D3B5007A 0DEA4598
	ds_read_b64_tr_b16 a[196:197], v9 offset:14336             // 000000004D10: DBC63800 C4000009
	ds_read_b64_tr_b16 a[198:199], v9 offset:14592             // 000000004D18: DBC63900 C6000009
	v_mfma_f32_16x16x32_bf16 v[126:129], a[156:159], v[34:37], v[126:129]// 000000004D20: D3B5007E 0DFA459C
	ds_read_b128 a[80:83], v20 offset:2048                     // 000000004D28: DBFE0800 50000014
	ds_read_b128 a[84:87], v20 offset:3072                     // 000000004D30: DBFE0C00 54000014
	v_mfma_f32_16x16x32_bf16 v[130:133], a[160:163], v[34:37], v[130:133]// 000000004D38: D3B50082 0E0A45A0
	ds_read_b64_tr_b16 a[200:201], v8 offset:15360             // 000000004D40: DBC63C00 C8000008
	ds_read_b64_tr_b16 a[202:203], v8 offset:15616             // 000000004D48: DBC63D00 CA000008
	v_mfma_f32_16x16x32_bf16 v[134:137], a[164:167], v[34:37], v[134:137]// 000000004D50: D3B50086 0E1A45A4
	ds_read_b128 a[88:91], v20 offset:4096                     // 000000004D58: DBFE1000 58000014
	ds_read_b128 a[92:95], v20 offset:5120                     // 000000004D60: DBFE1400 5C000014
	v_mfma_f32_16x16x32_bf16 v[138:141], a[168:171], v[34:37], v[138:141]// 000000004D68: D3B5008A 0E2A45A8
	ds_read_b64_tr_b16 a[204:205], v9 offset:15360             // 000000004D70: DBC63C00 CC000009
	ds_read_b64_tr_b16 a[206:207], v9 offset:15616             // 000000004D78: DBC63D00 CE000009
	v_mfma_f32_16x16x32_bf16 v[142:145], a[172:175], v[34:37], v[142:145]// 000000004D80: D3B5008E 0E3A45AC
	ds_read_b128 a[96:99], v20 offset:6144                     // 000000004D88: DBFE1800 60000014
	ds_read_b128 a[100:103], v20 offset:7168                   // 000000004D90: DBFE1C00 64000014
	v_mfma_f32_16x16x32_bf16 v[146:149], a[176:179], v[34:37], v[146:149]// 000000004D98: D3B50092 0E4A45B0
	v_max3_f32 v29, v28, v29, v29                              // 000000004DA0: D1D3001D 04763B1C
	v_max3_f32 v29, v30, v31, v29                              // 000000004DA8: D1D3001D 04763F1E
	v_mfma_f32_16x16x32_bf16 v[150:153], a[180:183], v[34:37], v[150:153]// 000000004DB0: D3B50096 0E5A45B4
	ds_read_b128 a[104:107], v20 offset:8192                   // 000000004DB8: DBFE2000 68000014
	ds_read_b128 a[108:111], v20 offset:9216                   // 000000004DC0: DBFE2400 6C000014
	v_mfma_f32_16x16x32_bf16 v[154:157], a[184:187], v[34:37], v[154:157]// 000000004DC8: D3B5009A 0E6A45B8
	v_mov_b32_e32 v28, 0xff800000                              // 000000004DD0: 7E3802FF FF800000
	v_cmp_eq_u32_e64 s[36:37], v28, v2                         // 000000004DD8: D0CA0024 0002051C
	v_mfma_f32_16x16x32_bf16 v[158:161], a[188:191], v[34:37], v[158:161]// 000000004DE0: D3B5009E 0E7A45BC
	ds_read_b128 a[112:115], v20 offset:10240                  // 000000004DE8: DBFE2800 70000014
	ds_read_b128 a[116:119], v20 offset:11264                  // 000000004DF0: DBFE2C00 74000014
	v_mfma_f32_16x16x32_bf16 v[162:165], a[192:195], v[34:37], v[162:165]// 000000004DF8: D3B500A2 0E8A45C0
	v_max_f32_e32 v29, v29, v2                                 // 000000004E00: 163A051D
	v_sub_f32_e32 v16, v2, v29                                 // 000000004E04: 04203B02
	v_mfma_f32_16x16x32_bf16 v[166:169], a[196:199], v[34:37], v[166:169]// 000000004E08: D3B500A6 0E9A45C4
	ds_read_b128 a[120:123], v20 offset:12288                  // 000000004E10: DBFE3000 78000014
	ds_read_b128 a[124:127], v20 offset:13312                  // 000000004E18: DBFE3400 7C000014
	v_mfma_f32_16x16x32_bf16 v[170:173], a[200:203], v[34:37], v[170:173]// 000000004E20: D3B500AA 0EAA45C8
	v_cndmask_b32_e64 v16, v16, 0, s[36:37]                    // 000000004E28: D1000010 00910110
	v_mov_b32_e32 v2, v29                                      // 000000004E30: 7E04031D
	v_mfma_f32_16x16x32_bf16 v[174:177], a[204:207], v[34:37], v[174:177]// 000000004E34: D3B500AE 0EBA45CC
	ds_read_b128 a[128:131], v20 offset:14336                  // 000000004E3C: DBFE3800 80000014
	ds_read_b128 a[132:135], v20 offset:15360                  // 000000004E44: DBFE3C00 84000014
	ds_read_b128 a[136:139], v20 offset:16384                  // 000000004E4C: DBFE4000 88000014
	ds_read_b128 a[140:143], v20 offset:17408                  // 000000004E54: DBFE4400 8C000014
	s_waitcnt lgkmcnt(0)                                       // 000000004E5C: BF8CC07F
	v_mfma_f32_16x16x32_bf16 v[34:37], a[72:75], a[0:3], 0     // 000000004E60: D3B50022 1A020148
	buffer_load_dword v22, v26, s[24:27], 0 offen              // 000000004E68: E0501000 8006161A
	v_mul_f32_e32 v29, s5, v29                                 // 000000004E70: 0A3A3A05
	s_mov_b32 s56, 0x2000                                      // 000000004E74: BEB800FF 00002000
	s_mul_i32 s57, s7, 0x2400                                  // 000000004E7C: 9239FF07 00002400
	s_add_u32 m0, s56, s57                                     // 000000004E84: 807C3938
	buffer_load_dwordx4 v32, s[20:23], 0 offen lds             // 000000004E88: E05D1000 80050020
	s_add_i32 m0, m0, 0x3c0                                    // 000000004E90: 817CFF7C 000003C0
	v_mfma_f32_16x16x32_bf16 v[34:37], a[76:79], a[4:7], v[34:37]// 000000004E98: D3B50022 1C8A094C
	buffer_load_dwordx4 v32, s[20:23], 0 offen offset:64 lds   // 000000004EA0: E05D1040 80050020
	s_add_i32 m0, m0, 0x3c0                                    // 000000004EA8: 817CFF7C 000003C0
	v_mfma_f32_16x16x32_bf16 v[34:37], a[80:83], a[8:11], v[34:37]// 000000004EB0: D3B50022 1C8A1150
	v_mul_f32_e32 v16, s5, v16                                 // 000000004EB8: 0A202005
	v_exp_f32_e32 v16, v16                                     // 000000004EBC: 7E204110
	v_mfma_f32_16x16x32_bf16 v[34:37], a[84:87], a[12:15], v[34:37]// 000000004EC0: D3B50022 1C8A1954
	v_add_u32_e32 v26, s73, v26                                // 000000004EC8: 68343449
	ds_read_b128 a[72:75], v20 offset:18432                    // 000000004ECC: DBFE4800 48000014
	ds_read_b128 a[76:79], v20 offset:19456                    // 000000004ED4: DBFE4C00 4C000014
	v_fma_f32 v42, v42, s5, -v29                               // 000000004EDC: D1CB002A 84740B2A
	v_mfma_f32_16x16x32_bf16 v[34:37], a[88:91], a[16:19], v[34:37]// 000000004EE4: D3B50022 1C8A2158
	ds_read_b128 a[80:83], v20 offset:20480                    // 000000004EEC: DBFE5000 50000014
	ds_read_b128 a[84:87], v20 offset:21504                    // 000000004EF4: DBFE5400 54000014
	v_fma_f32 v43, v43, s5, -v29                               // 000000004EFC: D1CB002B 84740B2B
	v_mfma_f32_16x16x32_bf16 v[34:37], a[92:95], a[20:23], v[34:37]// 000000004F04: D3B50022 1C8A295C
	buffer_load_dwordx4 v32, s[20:23], 0 offen offset:128 lds  // 000000004F0C: E05D1080 80050020
	s_add_i32 m0, m0, 0x3c0                                    // 000000004F14: 817CFF7C 000003C0
	v_mfma_f32_16x16x32_bf16 v[34:37], a[96:99], a[24:27], v[34:37]// 000000004F1C: D3B50022 1C8A3160
	v_fma_f32 v44, v44, s5, -v29                               // 000000004F24: D1CB002C 84740B2C
	v_fma_f32 v45, v45, s5, -v29                               // 000000004F2C: D1CB002D 84740B2D
	v_mfma_f32_16x16x32_bf16 v[34:37], a[100:103], a[28:31], v[34:37]// 000000004F34: D3B50022 1C8A3964
	ds_read_b128 a[88:91], v20 offset:22528                    // 000000004F3C: DBFE5800 58000014
	ds_read_b128 a[92:95], v20 offset:23552                    // 000000004F44: DBFE5C00 5C000014
	v_fma_f32 v46, v46, s5, -v29                               // 000000004F4C: D1CB002E 84740B2E
	v_mfma_f32_16x16x32_bf16 v[34:37], a[104:107], a[32:35], v[34:37]// 000000004F54: D3B50022 1C8A4168
	ds_read_b128 a[96:99], v20 offset:24576                    // 000000004F5C: DBFE6000 60000014
	ds_read_b128 a[100:103], v20 offset:25600                  // 000000004F64: DBFE6400 64000014
	v_fma_f32 v47, v47, s5, -v29                               // 000000004F6C: D1CB002F 84740B2F
	v_mfma_f32_16x16x32_bf16 v[34:37], a[108:111], a[36:39], v[34:37]// 000000004F74: D3B50022 1C8A496C
	buffer_load_dwordx4 v32, s[20:23], 0 offen offset:192 lds  // 000000004F7C: E05D10C0 80050020
	s_add_i32 m0, m0, 0x3c0                                    // 000000004F84: 817CFF7C 000003C0
	v_mfma_f32_16x16x32_bf16 v[34:37], a[112:115], a[40:43], v[34:37]// 000000004F8C: D3B50022 1C8A5170
	v_fma_f32 v48, v48, s5, -v29                               // 000000004F94: D1CB0030 84740B30
	v_fma_f32 v49, v49, s5, -v29                               // 000000004F9C: D1CB0031 84740B31
	v_mfma_f32_16x16x32_bf16 v[34:37], a[116:119], a[44:47], v[34:37]// 000000004FA4: D3B50022 1C8A5974
	v_exp_f32_e32 v42, v42                                     // 000000004FAC: 7E54412A
	v_mfma_f32_16x16x32_bf16 v[34:37], a[120:123], a[48:51], v[34:37]// 000000004FB0: D3B50022 1C8A6178
	ds_read_b128 a[104:107], v20 offset:26624                  // 000000004FB8: DBFE6800 68000014
	ds_read_b128 a[108:111], v20 offset:27648                  // 000000004FC0: DBFE6C00 6C000014
	v_exp_f32_e32 v43, v43                                     // 000000004FC8: 7E56412B
	v_mfma_f32_16x16x32_bf16 v[34:37], a[124:127], a[52:55], v[34:37]// 000000004FCC: D3B50022 1C8A697C
	buffer_load_dwordx4 v32, s[20:23], 0 offen offset:256 lds  // 000000004FD4: E05D1100 80050020
	s_add_i32 m0, m0, 0x3c0                                    // 000000004FDC: 817CFF7C 000003C0
	v_mfma_f32_16x16x32_bf16 v[34:37], a[128:131], a[56:59], v[34:37]// 000000004FE4: D3B50022 1C8A7180
	v_exp_f32_e32 v44, v44                                     // 000000004FEC: 7E58412C
	v_mfma_f32_16x16x32_bf16 v[34:37], a[132:135], a[60:63], v[34:37]// 000000004FF0: D3B50022 1C8A7984
	ds_read_b128 a[112:115], v20 offset:28672                  // 000000004FF8: DBFE7000 70000014
	ds_read_b128 a[116:119], v20 offset:29696                  // 000000005000: DBFE7400 74000014
	v_exp_f32_e32 v45, v45                                     // 000000005008: 7E5A412D
	v_mfma_f32_16x16x32_bf16 v[34:37], a[136:139], a[64:67], v[34:37]// 00000000500C: D3B50022 1C8A8188
	ds_read_b128 a[120:123], v20 offset:30720                  // 000000005014: DBFE7800 78000014
	ds_read_b128 a[124:127], v20 offset:31744                  // 00000000501C: DBFE7C00 7C000014
	v_exp_f32_e32 v46, v46                                     // 000000005024: 7E5C412E
	v_mfma_f32_16x16x32_bf16 v[34:37], a[140:143], a[68:71], v[34:37]// 000000005028: D3B50022 1C8A898C
	ds_read_b128 a[128:131], v20 offset:32768                  // 000000005030: DBFE8000 80000014
	ds_read_b128 a[132:135], v20 offset:33792                  // 000000005038: DBFE8400 84000014
	v_exp_f32_e32 v47, v47                                     // 000000005040: 7E5E412F
	ds_read_b128 a[136:139], v20 offset:34816                  // 000000005044: DBFE8800 88000014
	ds_read_b128 a[140:143], v20 offset:35840                  // 00000000504C: DBFE8C00 8C000014
	v_exp_f32_e32 v48, v48                                     // 000000005054: 7E604130
	v_exp_f32_e32 v49, v49                                     // 000000005058: 7E624131
	v_mul_f32_e32 v4, v16, v4                                  // 00000000505C: 0A080910
	v_mov_b32_e32 v28, v42                                     // 000000005060: 7E38032A
	v_add_f32_e32 v28, v43, v28                                // 000000005064: 0238392B
	v_add_f32_e32 v28, v44, v28                                // 000000005068: 0238392C
	v_add_f32_e32 v28, v45, v28                                // 00000000506C: 0238392D
	v_add_f32_e32 v28, v46, v28                                // 000000005070: 0238392E
	v_add_f32_e32 v28, v47, v28                                // 000000005074: 0238392F
	v_add_f32_e32 v28, v48, v28                                // 000000005078: 02383930
	v_add_f32_e32 v28, v49, v28                                // 00000000507C: 02383931
	v_add_f32_e32 v4, v28, v4                                  // 000000005080: 0208091C
	v_cvt_pk_bf16_f32 v42, v42, v43                            // 000000005084: D268002A 0002572A
	v_cvt_pk_bf16_f32 v43, v44, v45                            // 00000000508C: D268002B 00025B2C
	v_cvt_pk_bf16_f32 v44, v46, v47                            // 000000005094: D268002C 00025F2E
	v_cvt_pk_bf16_f32 v45, v48, v49                            // 00000000509C: D268002D 00026330
	s_nop 0                                                    // 0000000050A4: BF800000
	v_permlane32_swap_b32_e32 v42, v44                         // 0000000050A8: 7E54B52C
	v_permlane32_swap_b32_e32 v43, v45                         // 0000000050AC: 7E56B52D
	s_nop 0                                                    // 0000000050B0: BF800000
	v_permlane16_swap_b32_e32 v42, v44                         // 0000000050B4: 7E54B32C
	v_permlane16_swap_b32_e32 v43, v45                         // 0000000050B8: 7E56B32D
	s_waitcnt lgkmcnt(0)                                       // 0000000050BC: BF8CC07F
	v_mfma_f32_16x16x32_bf16 v[38:41], a[72:75], a[0:3], 0     // 0000000050C0: D3B50026 1A020148
	v_mul_f32_e32 v50, v16, v50                                // 0000000050C8: 0A646510
	v_mul_f32_e32 v51, v16, v51                                // 0000000050CC: 0A666710
	ds_read_b64_tr_b16 a[144:145], v10                         // 0000000050D0: DBC60000 9000000A
	ds_read_b64_tr_b16 a[146:147], v10 offset:256              // 0000000050D8: DBC60100 9200000A
	v_mfma_f32_16x16x32_bf16 v[38:41], a[76:79], a[4:7], v[38:41]// 0000000050E0: D3B50026 1C9A094C
	buffer_load_dwordx4 v32, s[20:23], 0 offen offset:320 lds  // 0000000050E8: E05D1140 80050020
	s_add_i32 m0, m0, 0x3c0                                    // 0000000050F0: 817CFF7C 000003C0
	v_mul_f32_e32 v52, v16, v52                                // 0000000050F8: 0A686910
	v_mul_f32_e32 v53, v16, v53                                // 0000000050FC: 0A6A6B10
	v_mfma_f32_16x16x32_bf16 v[38:41], a[80:83], a[8:11], v[38:41]// 000000005100: D3B50026 1C9A1150
	v_mul_f32_e32 v54, v16, v54                                // 000000005108: 0A6C6D10
	v_mul_f32_e32 v55, v16, v55                                // 00000000510C: 0A6E6F10
	ds_read_b64_tr_b16 a[148:149], v11                         // 000000005110: DBC60000 9400000B
	ds_read_b64_tr_b16 a[150:151], v11 offset:256              // 000000005118: DBC60100 9600000B
	v_mfma_f32_16x16x32_bf16 v[38:41], a[84:87], a[12:15], v[38:41]// 000000005120: D3B50026 1C9A1954
	v_mul_f32_e32 v56, v16, v56                                // 000000005128: 0A707110
	v_mul_f32_e32 v57, v16, v57                                // 00000000512C: 0A727310
	ds_read_b64_tr_b16 a[152:153], v10 offset:1024             // 000000005130: DBC60400 9800000A
	ds_read_b64_tr_b16 a[154:155], v10 offset:1280             // 000000005138: DBC60500 9A00000A
	v_mfma_f32_16x16x32_bf16 v[38:41], a[88:91], a[16:19], v[38:41]// 000000005140: D3B50026 1C9A2158
	v_mul_f32_e32 v58, v16, v58                                // 000000005148: 0A747510
	v_mul_f32_e32 v59, v16, v59                                // 00000000514C: 0A767710
	ds_read_b64_tr_b16 a[156:157], v11 offset:1024             // 000000005150: DBC60400 9C00000B
	ds_read_b64_tr_b16 a[158:159], v11 offset:1280             // 000000005158: DBC60500 9E00000B
	v_mfma_f32_16x16x32_bf16 v[38:41], a[92:95], a[20:23], v[38:41]// 000000005160: D3B50026 1C9A295C
	v_mul_f32_e32 v60, v16, v60                                // 000000005168: 0A787910
	v_mul_f32_e32 v61, v16, v61                                // 00000000516C: 0A7A7B10
	ds_read_b64_tr_b16 a[160:161], v10 offset:2048             // 000000005170: DBC60800 A000000A
	ds_read_b64_tr_b16 a[162:163], v10 offset:2304             // 000000005178: DBC60900 A200000A
	v_mfma_f32_16x16x32_bf16 v[38:41], a[96:99], a[24:27], v[38:41]// 000000005180: D3B50026 1C9A3160
	v_mul_f32_e32 v62, v16, v62                                // 000000005188: 0A7C7D10
	v_mul_f32_e32 v63, v16, v63                                // 00000000518C: 0A7E7F10
	ds_read_b64_tr_b16 a[164:165], v11 offset:2048             // 000000005190: DBC60800 A400000B
	ds_read_b64_tr_b16 a[166:167], v11 offset:2304             // 000000005198: DBC60900 A600000B
	v_mfma_f32_16x16x32_bf16 v[38:41], a[100:103], a[28:31], v[38:41]// 0000000051A0: D3B50026 1C9A3964
	buffer_load_dwordx4 v32, s[20:23], 0 offen offset:384 lds  // 0000000051A8: E05D1180 80050020
	s_add_i32 m0, m0, 0x3c0                                    // 0000000051B0: 817CFF7C 000003C0
	v_mfma_f32_16x16x32_bf16 v[38:41], a[104:107], a[32:35], v[38:41]// 0000000051B8: D3B50026 1C9A4168
	v_mul_f32_e32 v64, v16, v64                                // 0000000051C0: 0A808110
	v_mul_f32_e32 v65, v16, v65                                // 0000000051C4: 0A828310
	ds_read_b64_tr_b16 a[168:169], v10 offset:3072             // 0000000051C8: DBC60C00 A800000A
	ds_read_b64_tr_b16 a[170:171], v10 offset:3328             // 0000000051D0: DBC60D00 AA00000A
	v_mfma_f32_16x16x32_bf16 v[38:41], a[108:111], a[36:39], v[38:41]// 0000000051D8: D3B50026 1C9A496C
	v_mul_f32_e32 v66, v16, v66                                // 0000000051E0: 0A848510
	v_mul_f32_e32 v67, v16, v67                                // 0000000051E4: 0A868710
	ds_read_b64_tr_b16 a[172:173], v11 offset:3072             // 0000000051E8: DBC60C00 AC00000B
	ds_read_b64_tr_b16 a[174:175], v11 offset:3328             // 0000000051F0: DBC60D00 AE00000B
	v_mfma_f32_16x16x32_bf16 v[38:41], a[112:115], a[40:43], v[38:41]// 0000000051F8: D3B50026 1C9A5170
	v_mul_f32_e32 v68, v16, v68                                // 000000005200: 0A888910
	v_mul_f32_e32 v69, v16, v69                                // 000000005204: 0A8A8B10
	ds_read_b64_tr_b16 a[176:177], v10 offset:4096             // 000000005208: DBC61000 B000000A
	ds_read_b64_tr_b16 a[178:179], v10 offset:4352             // 000000005210: DBC61100 B200000A
	v_mfma_f32_16x16x32_bf16 v[38:41], a[116:119], a[44:47], v[38:41]// 000000005218: D3B50026 1C9A5974
	buffer_load_dwordx4 v32, s[20:23], 0 offen offset:448 lds  // 000000005220: E05D11C0 80050020
	s_add_i32 m0, m0, 0x3c0                                    // 000000005228: 817CFF7C 000003C0
	v_mul_f32_e32 v70, v16, v70                                // 000000005230: 0A8C8D10
	v_mul_f32_e32 v71, v16, v71                                // 000000005234: 0A8E8F10
	v_mfma_f32_16x16x32_bf16 v[38:41], a[120:123], a[48:51], v[38:41]// 000000005238: D3B50026 1C9A6178
	v_mul_f32_e32 v72, v16, v72                                // 000000005240: 0A909110
	v_mul_f32_e32 v73, v16, v73                                // 000000005244: 0A929310
	ds_read_b64_tr_b16 a[180:181], v11 offset:4096             // 000000005248: DBC61000 B400000B
	ds_read_b64_tr_b16 a[182:183], v11 offset:4352             // 000000005250: DBC61100 B600000B
	v_mfma_f32_16x16x32_bf16 v[38:41], a[124:127], a[52:55], v[38:41]// 000000005258: D3B50026 1C9A697C
	v_mul_f32_e32 v74, v16, v74                                // 000000005260: 0A949510
	v_mul_f32_e32 v75, v16, v75                                // 000000005264: 0A969710
	ds_read_b64_tr_b16 a[184:185], v10 offset:5120             // 000000005268: DBC61400 B800000A
	ds_read_b64_tr_b16 a[186:187], v10 offset:5376             // 000000005270: DBC61500 BA00000A
	v_mfma_f32_16x16x32_bf16 v[38:41], a[128:131], a[56:59], v[38:41]// 000000005278: D3B50026 1C9A7180
	v_mul_f32_e32 v76, v16, v76                                // 000000005280: 0A989910
	v_mul_f32_e32 v77, v16, v77                                // 000000005284: 0A9A9B10
	ds_read_b64_tr_b16 a[188:189], v11 offset:5120             // 000000005288: DBC61400 BC00000B
	ds_read_b64_tr_b16 a[190:191], v11 offset:5376             // 000000005290: DBC61500 BE00000B
	v_mfma_f32_16x16x32_bf16 v[38:41], a[132:135], a[60:63], v[38:41]// 000000005298: D3B50026 1C9A7984
	buffer_load_dwordx4 v32, s[20:23], 0 offen offset:512 lds  // 0000000052A0: E05D1200 80050020
	s_add_i32 m0, m0, 0x3c0                                    // 0000000052A8: 817CFF7C 000003C0
	v_mfma_f32_16x16x32_bf16 v[38:41], a[136:139], a[64:67], v[38:41]// 0000000052B0: D3B50026 1C9A8188
	v_mul_f32_e32 v78, v16, v78                                // 0000000052B8: 0A9C9D10
	v_mul_f32_e32 v79, v16, v79                                // 0000000052BC: 0A9E9F10
	ds_read_b64_tr_b16 a[192:193], v10 offset:6144             // 0000000052C0: DBC61800 C000000A
	ds_read_b64_tr_b16 a[194:195], v10 offset:6400             // 0000000052C8: DBC61900 C200000A
	ds_read_b64_tr_b16 a[196:197], v11 offset:6144             // 0000000052D0: DBC61800 C400000B
	ds_read_b64_tr_b16 a[198:199], v11 offset:6400             // 0000000052D8: DBC61900 C600000B
	ds_read_b64_tr_b16 a[200:201], v10 offset:7168             // 0000000052E0: DBC61C00 C800000A
	ds_read_b64_tr_b16 a[202:203], v10 offset:7424             // 0000000052E8: DBC61D00 CA00000A
	ds_read_b64_tr_b16 a[204:205], v11 offset:7168             // 0000000052F0: DBC61C00 CC00000B
	ds_read_b64_tr_b16 a[206:207], v11 offset:7424             // 0000000052F8: DBC61D00 CE00000B
	v_mov_b32_e32 v30, v16                                     // 000000005300: 7E3C0310
	v_mov_b32_e32 v31, v16                                     // 000000005304: 7E3E0310
	v_pk_mul_f32 v[80:81], v[30:31], v[80:81]                  // 000000005308: D3B14050 1802A11E
	v_pk_mul_f32 v[82:83], v[30:31], v[82:83]                  // 000000005310: D3B14052 1802A51E
	v_pk_mul_f32 v[84:85], v[30:31], v[84:85]                  // 000000005318: D3B14054 1802A91E
	v_pk_mul_f32 v[86:87], v[30:31], v[86:87]                  // 000000005320: D3B14056 1802AD1E
	v_pk_mul_f32 v[88:89], v[30:31], v[88:89]                  // 000000005328: D3B14058 1802B11E
	v_pk_mul_f32 v[90:91], v[30:31], v[90:91]                  // 000000005330: D3B1405A 1802B51E
	v_pk_mul_f32 v[92:93], v[30:31], v[92:93]                  // 000000005338: D3B1405C 1802B91E
	v_pk_mul_f32 v[94:95], v[30:31], v[94:95]                  // 000000005340: D3B1405E 1802BD1E
	v_pk_mul_f32 v[96:97], v[30:31], v[96:97]                  // 000000005348: D3B14060 1802C11E
	v_pk_mul_f32 v[98:99], v[30:31], v[98:99]                  // 000000005350: D3B14062 1802C51E
	v_pk_mul_f32 v[100:101], v[30:31], v[100:101]              // 000000005358: D3B14064 1802C91E
	v_pk_mul_f32 v[102:103], v[30:31], v[102:103]              // 000000005360: D3B14066 1802CD1E
	v_pk_mul_f32 v[104:105], v[30:31], v[104:105]              // 000000005368: D3B14068 1802D11E
	v_pk_mul_f32 v[106:107], v[30:31], v[106:107]              // 000000005370: D3B1406A 1802D51E
	v_pk_mul_f32 v[108:109], v[30:31], v[108:109]              // 000000005378: D3B1406C 1802D91E
	v_pk_mul_f32 v[110:111], v[30:31], v[110:111]              // 000000005380: D3B1406E 1802DD1E
	v_pk_mul_f32 v[112:113], v[30:31], v[112:113]              // 000000005388: D3B14070 1802E11E
	v_pk_mul_f32 v[114:115], v[30:31], v[114:115]              // 000000005390: D3B14072 1802E51E
	v_pk_mul_f32 v[116:117], v[30:31], v[116:117]              // 000000005398: D3B14074 1802E91E
	v_pk_mul_f32 v[118:119], v[30:31], v[118:119]              // 0000000053A0: D3B14076 1802ED1E
	v_pk_mul_f32 v[120:121], v[30:31], v[120:121]              // 0000000053A8: D3B14078 1802F11E
	v_pk_mul_f32 v[122:123], v[30:31], v[122:123]              // 0000000053B0: D3B1407A 1802F51E
	v_pk_mul_f32 v[124:125], v[30:31], v[124:125]              // 0000000053B8: D3B1407C 1802F91E
	v_pk_mul_f32 v[126:127], v[30:31], v[126:127]              // 0000000053C0: D3B1407E 1802FD1E
	v_pk_mul_f32 v[128:129], v[30:31], v[128:129]              // 0000000053C8: D3B14080 1803011E
	v_pk_mul_f32 v[130:131], v[30:31], v[130:131]              // 0000000053D0: D3B14082 1803051E
	v_pk_mul_f32 v[132:133], v[30:31], v[132:133]              // 0000000053D8: D3B14084 1803091E
	v_pk_mul_f32 v[134:135], v[30:31], v[134:135]              // 0000000053E0: D3B14086 18030D1E
	v_pk_mul_f32 v[136:137], v[30:31], v[136:137]              // 0000000053E8: D3B14088 1803111E
	v_pk_mul_f32 v[138:139], v[30:31], v[138:139]              // 0000000053F0: D3B1408A 1803151E
	v_pk_mul_f32 v[140:141], v[30:31], v[140:141]              // 0000000053F8: D3B1408C 1803191E
	v_pk_mul_f32 v[142:143], v[30:31], v[142:143]              // 000000005400: D3B1408E 18031D1E
	v_pk_mul_f32 v[144:145], v[30:31], v[144:145]              // 000000005408: D3B14090 1803211E
	v_pk_mul_f32 v[146:147], v[30:31], v[146:147]              // 000000005410: D3B14092 1803251E
	v_pk_mul_f32 v[148:149], v[30:31], v[148:149]              // 000000005418: D3B14094 1803291E
	v_pk_mul_f32 v[150:151], v[30:31], v[150:151]              // 000000005420: D3B14096 18032D1E
	v_pk_mul_f32 v[152:153], v[30:31], v[152:153]              // 000000005428: D3B14098 1803311E
	v_pk_mul_f32 v[154:155], v[30:31], v[154:155]              // 000000005430: D3B1409A 1803351E
	v_pk_mul_f32 v[156:157], v[30:31], v[156:157]              // 000000005438: D3B1409C 1803391E
	v_pk_mul_f32 v[158:159], v[30:31], v[158:159]              // 000000005440: D3B1409E 18033D1E
	v_pk_mul_f32 v[160:161], v[30:31], v[160:161]              // 000000005448: D3B140A0 1803411E
	v_pk_mul_f32 v[162:163], v[30:31], v[162:163]              // 000000005450: D3B140A2 1803451E
	v_pk_mul_f32 v[164:165], v[30:31], v[164:165]              // 000000005458: D3B140A4 1803491E
	v_pk_mul_f32 v[166:167], v[30:31], v[166:167]              // 000000005460: D3B140A6 18034D1E
	v_pk_mul_f32 v[168:169], v[30:31], v[168:169]              // 000000005468: D3B140A8 1803511E
	v_pk_mul_f32 v[170:171], v[30:31], v[170:171]              // 000000005470: D3B140AA 1803551E
	v_pk_mul_f32 v[172:173], v[30:31], v[172:173]              // 000000005478: D3B140AC 1803591E
	v_pk_mul_f32 v[174:175], v[30:31], v[174:175]              // 000000005480: D3B140AE 18035D1E
	v_pk_mul_f32 v[176:177], v[30:31], v[176:177]              // 000000005488: D3B140B0 1803611E
	v_mfma_f32_16x16x32_bf16 v[38:41], a[140:143], a[68:71], v[38:41]// 000000005490: D3B50026 1C9A898C
	s_addk_i32 s70, 0x1                                        // 000000005498: B7460001
	s_cmp_lt_i32 s70, s71                                      // 00000000549C: BF044746
	s_cbranch_scc0 label_3B18                                  // 0000000054A0: BF84025D
	s_waitcnt lgkmcnt(0)                                       // 0000000054A4: BF8CC07F
	v_mul_u32_u24_e64 v32, v25, s68                            // 0000000054A8: D1080020 00008919
	v_add_u32_e32 v32, v32, v1                                 // 0000000054B0: 68400320
	v_mfma_f32_16x16x32_bf16 v[50:53], a[144:147], v[42:45], v[50:53]// 0000000054B4: D3B50032 0CCA5590
	v_mov_b32_e32 v29, v34                                     // 0000000054BC: 7E3A0322
	v_max3_f32 v29, v34, v35, v29                              // 0000000054C0: D1D3001D 04764722
	v_mfma_f32_16x16x32_bf16 v[54:57], a[148:151], v[42:45], v[54:57]// 0000000054C8: D3B50036 0CDA5594
	ds_read_b64_tr_b16 a[144:145], v10 offset:8192             // 0000000054D0: DBC62000 9000000A
	ds_read_b64_tr_b16 a[146:147], v10 offset:8448             // 0000000054D8: DBC62100 9200000A
	v_mfma_f32_16x16x32_bf16 v[58:61], a[152:155], v[42:45], v[58:61]// 0000000054E0: D3B5003A 0CEA5598
	v_max3_f32 v29, v36, v37, v29                              // 0000000054E8: D1D3001D 04764B24
	v_max3_f32 v29, v38, v39, v29                              // 0000000054F0: D1D3001D 04764F26
	v_mfma_f32_16x16x32_bf16 v[62:65], a[156:159], v[42:45], v[62:65]// 0000000054F8: D3B5003E 0CFA559C
	ds_read_b64_tr_b16 a[148:149], v11 offset:8192             // 000000005500: DBC62000 9400000B
	ds_read_b64_tr_b16 a[150:151], v11 offset:8448             // 000000005508: DBC62100 9600000B
	v_mfma_f32_16x16x32_bf16 v[66:69], a[160:163], v[42:45], v[66:69]// 000000005510: D3B50042 0D0A55A0
	v_max3_f32 v29, v40, v41, v29                              // 000000005518: D1D3001D 04765328
	v_mov_b32_e32 v28, v29                                     // 000000005520: 7E38031D
	v_mfma_f32_16x16x32_bf16 v[70:73], a[164:167], v[42:45], v[70:73]// 000000005524: D3B50046 0D1A55A4
	ds_read_b64_tr_b16 a[152:153], v10 offset:9216             // 00000000552C: DBC62400 9800000A
	ds_read_b64_tr_b16 a[154:155], v10 offset:9472             // 000000005534: DBC62500 9A00000A
	v_mfma_f32_16x16x32_bf16 v[74:77], a[168:171], v[42:45], v[74:77]// 00000000553C: D3B5004A 0D2A55A8
	v_mov_b32_e32 v29, v29                                     // 000000005544: 7E3A031D
	s_nop 1                                                    // 000000005548: BF800001
	v_mfma_f32_16x16x32_bf16 v[78:81], a[172:175], v[42:45], v[78:81]// 00000000554C: D3B5004E 0D3A55AC
	ds_read_b64_tr_b16 a[156:157], v11 offset:9216             // 000000005554: DBC62400 9C00000B
	ds_read_b64_tr_b16 a[158:159], v11 offset:9472             // 00000000555C: DBC62500 9E00000B
	v_mfma_f32_16x16x32_bf16 v[82:85], a[176:179], v[42:45], v[82:85]// 000000005564: D3B50052 0D4A55B0
	v_permlane16_swap_b32_e32 v28, v29                         // 00000000556C: 7E38B31D
	v_mfma_f32_16x16x32_bf16 v[86:89], a[180:183], v[42:45], v[86:89]// 000000005570: D3B50056 0D5A55B4
	ds_read_b64_tr_b16 a[160:161], v10 offset:10240            // 000000005578: DBC62800 A000000A
	ds_read_b64_tr_b16 a[162:163], v10 offset:10496            // 000000005580: DBC62900 A200000A
	v_mfma_f32_16x16x32_bf16 v[90:93], a[184:187], v[42:45], v[90:93]// 000000005588: D3B5005A 0D6A55B8
	v_mov_b32_e32 v31, v28                                     // 000000005590: 7E3E031C
	v_mov_b32_e32 v30, v29                                     // 000000005594: 7E3C031D
	v_mfma_f32_16x16x32_bf16 v[94:97], a[188:191], v[42:45], v[94:97]// 000000005598: D3B5005E 0D7A55BC
	ds_read_b64_tr_b16 a[164:165], v11 offset:10240            // 0000000055A0: DBC62800 A400000B
	ds_read_b64_tr_b16 a[166:167], v11 offset:10496            // 0000000055A8: DBC62900 A600000B
	v_mfma_f32_16x16x32_bf16 v[98:101], a[192:195], v[42:45], v[98:101]// 0000000055B0: D3B50062 0D8A55C0
	s_nop 1                                                    // 0000000055B8: BF800001
	v_permlane32_swap_b32_e32 v28, v29                         // 0000000055BC: 7E38B51D
	v_mfma_f32_16x16x32_bf16 v[102:105], a[196:199], v[42:45], v[102:105]// 0000000055C0: D3B50066 0D9A55C4
	ds_read_b64_tr_b16 a[168:169], v10 offset:11264            // 0000000055C8: DBC62C00 A800000A
	ds_read_b64_tr_b16 a[170:171], v10 offset:11520            // 0000000055D0: DBC62D00 AA00000A
	v_mfma_f32_16x16x32_bf16 v[106:109], a[200:203], v[42:45], v[106:109]// 0000000055D8: D3B5006A 0DAA55C8
	v_permlane32_swap_b32_e32 v30, v31                         // 0000000055E0: 7E3CB51F
	v_mfma_f32_16x16x32_bf16 v[110:113], a[204:207], v[42:45], v[110:113]// 0000000055E4: D3B5006E 0DBA55CC
	ds_read_b64_tr_b16 a[172:173], v11 offset:11264            // 0000000055EC: DBC62C00 AC00000B
	ds_read_b64_tr_b16 a[174:175], v11 offset:11520            // 0000000055F4: DBC62D00 AE00000B
	ds_read_b64_tr_b16 a[176:177], v10 offset:12288            // 0000000055FC: DBC63000 B000000A
	ds_read_b64_tr_b16 a[178:179], v10 offset:12544            // 000000005604: DBC63100 B200000A
	ds_read_b64_tr_b16 a[180:181], v11 offset:12288            // 00000000560C: DBC63000 B400000B
	ds_read_b64_tr_b16 a[182:183], v11 offset:12544            // 000000005614: DBC63100 B600000B
	ds_read_b64_tr_b16 a[184:185], v10 offset:13312            // 00000000561C: DBC63400 B800000A
	ds_read_b64_tr_b16 a[186:187], v10 offset:13568            // 000000005624: DBC63500 BA00000A
	ds_read_b64_tr_b16 a[188:189], v11 offset:13312            // 00000000562C: DBC63400 BC00000B
	ds_read_b64_tr_b16 a[190:191], v11 offset:13568            // 000000005634: DBC63500 BE00000B
	s_waitcnt lgkmcnt(0)                                       // 00000000563C: BF8CC07F
	v_mfma_f32_16x16x32_bf16 v[114:117], a[144:147], v[42:45], v[114:117]// 000000005640: D3B50072 0DCA5590
	ds_read_b64_tr_b16 a[192:193], v10 offset:14336            // 000000005648: DBC63800 C000000A
	ds_read_b64_tr_b16 a[194:195], v10 offset:14592            // 000000005650: DBC63900 C200000A
	v_mfma_f32_16x16x32_bf16 v[118:121], a[148:151], v[42:45], v[118:121]// 000000005658: D3B50076 0DDA5594
	s_waitcnt vmcnt(10)                                        // 000000005660: BF8C0F7A
	s_barrier                                                  // 000000005664: BF8A0000
	ds_read_b128 a[72:75], v21                                 // 000000005668: DBFE0000 48000015
	ds_read_b128 a[76:79], v21 offset:1024                     // 000000005670: DBFE0400 4C000015
	v_mfma_f32_16x16x32_bf16 v[122:125], a[152:155], v[42:45], v[122:125]// 000000005678: D3B5007A 0DEA5598
	ds_read_b64_tr_b16 a[196:197], v11 offset:14336            // 000000005680: DBC63800 C400000B
	ds_read_b64_tr_b16 a[198:199], v11 offset:14592            // 000000005688: DBC63900 C600000B
	v_mfma_f32_16x16x32_bf16 v[126:129], a[156:159], v[42:45], v[126:129]// 000000005690: D3B5007E 0DFA559C
	ds_read_b128 a[80:83], v21 offset:2048                     // 000000005698: DBFE0800 50000015
	ds_read_b128 a[84:87], v21 offset:3072                     // 0000000056A0: DBFE0C00 54000015
	v_mfma_f32_16x16x32_bf16 v[130:133], a[160:163], v[42:45], v[130:133]// 0000000056A8: D3B50082 0E0A55A0
	ds_read_b64_tr_b16 a[200:201], v10 offset:15360            // 0000000056B0: DBC63C00 C800000A
	ds_read_b64_tr_b16 a[202:203], v10 offset:15616            // 0000000056B8: DBC63D00 CA00000A
	v_mfma_f32_16x16x32_bf16 v[134:137], a[164:167], v[42:45], v[134:137]// 0000000056C0: D3B50086 0E1A55A4
	ds_read_b128 a[88:91], v21 offset:4096                     // 0000000056C8: DBFE1000 58000015
	ds_read_b128 a[92:95], v21 offset:5120                     // 0000000056D0: DBFE1400 5C000015
	v_mfma_f32_16x16x32_bf16 v[138:141], a[168:171], v[42:45], v[138:141]// 0000000056D8: D3B5008A 0E2A55A8
	ds_read_b64_tr_b16 a[204:205], v11 offset:15360            // 0000000056E0: DBC63C00 CC00000B
	ds_read_b64_tr_b16 a[206:207], v11 offset:15616            // 0000000056E8: DBC63D00 CE00000B
	v_mfma_f32_16x16x32_bf16 v[142:145], a[172:175], v[42:45], v[142:145]// 0000000056F0: D3B5008E 0E3A55AC
	ds_read_b128 a[96:99], v21 offset:6144                     // 0000000056F8: DBFE1800 60000015
	ds_read_b128 a[100:103], v21 offset:7168                   // 000000005700: DBFE1C00 64000015
	v_mfma_f32_16x16x32_bf16 v[146:149], a[176:179], v[42:45], v[146:149]// 000000005708: D3B50092 0E4A55B0
	v_max3_f32 v29, v28, v29, v29                              // 000000005710: D1D3001D 04763B1C
	v_max3_f32 v29, v30, v31, v29                              // 000000005718: D1D3001D 04763F1E
	v_mfma_f32_16x16x32_bf16 v[150:153], a[180:183], v[42:45], v[150:153]// 000000005720: D3B50096 0E5A55B4
	ds_read_b128 a[104:107], v21 offset:8192                   // 000000005728: DBFE2000 68000015
	ds_read_b128 a[108:111], v21 offset:9216                   // 000000005730: DBFE2400 6C000015
	v_mfma_f32_16x16x32_bf16 v[154:157], a[184:187], v[42:45], v[154:157]// 000000005738: D3B5009A 0E6A55B8
	v_mov_b32_e32 v28, 0xff800000                              // 000000005740: 7E3802FF FF800000
	v_cmp_eq_u32_e64 s[36:37], v28, v2                         // 000000005748: D0CA0024 0002051C
	v_mfma_f32_16x16x32_bf16 v[158:161], a[188:191], v[42:45], v[158:161]// 000000005750: D3B5009E 0E7A55BC
	ds_read_b128 a[112:115], v21 offset:10240                  // 000000005758: DBFE2800 70000015
	ds_read_b128 a[116:119], v21 offset:11264                  // 000000005760: DBFE2C00 74000015
	v_mfma_f32_16x16x32_bf16 v[162:165], a[192:195], v[42:45], v[162:165]// 000000005768: D3B500A2 0E8A55C0
	v_max_f32_e32 v29, v29, v2                                 // 000000005770: 163A051D
	v_sub_f32_e32 v16, v2, v29                                 // 000000005774: 04203B02
	v_mfma_f32_16x16x32_bf16 v[166:169], a[196:199], v[42:45], v[166:169]// 000000005778: D3B500A6 0E9A55C4
	ds_read_b128 a[120:123], v21 offset:12288                  // 000000005780: DBFE3000 78000015
	ds_read_b128 a[124:127], v21 offset:13312                  // 000000005788: DBFE3400 7C000015
	v_mfma_f32_16x16x32_bf16 v[170:173], a[200:203], v[42:45], v[170:173]// 000000005790: D3B500AA 0EAA55C8
	v_cndmask_b32_e64 v16, v16, 0, s[36:37]                    // 000000005798: D1000010 00910110
	v_mov_b32_e32 v2, v29                                      // 0000000057A0: 7E04031D
	v_mfma_f32_16x16x32_bf16 v[174:177], a[204:207], v[42:45], v[174:177]// 0000000057A4: D3B500AE 0EBA55CC
	ds_read_b128 a[128:131], v21 offset:14336                  // 0000000057AC: DBFE3800 80000015
	ds_read_b128 a[132:135], v21 offset:15360                  // 0000000057B4: DBFE3C00 84000015
	ds_read_b128 a[136:139], v21 offset:16384                  // 0000000057BC: DBFE4000 88000015
	ds_read_b128 a[140:143], v21 offset:17408                  // 0000000057C4: DBFE4400 8C000015
	s_waitcnt lgkmcnt(0)                                       // 0000000057CC: BF8CC07F
	v_mfma_f32_16x16x32_bf16 v[42:45], a[72:75], a[0:3], 0     // 0000000057D0: D3B5002A 1A020148
	buffer_load_dword v23, v26, s[24:27], 0 offen              // 0000000057D8: E0501000 8006171A
	v_mul_f32_e32 v29, s5, v29                                 // 0000000057E0: 0A3A3A05
	s_mov_b32 s56, 0xb000                                      // 0000000057E4: BEB800FF 0000B000
	s_mul_i32 s57, s7, 0x2400                                  // 0000000057EC: 9239FF07 00002400
	s_add_u32 m0, s56, s57                                     // 0000000057F4: 807C3938
	buffer_load_dwordx4 v32, s[20:23], 0 offen lds             // 0000000057F8: E05D1000 80050020
	s_add_i32 m0, m0, 0x3c0                                    // 000000005800: 817CFF7C 000003C0
	v_mfma_f32_16x16x32_bf16 v[42:45], a[76:79], a[4:7], v[42:45]// 000000005808: D3B5002A 1CAA094C
	buffer_load_dwordx4 v32, s[20:23], 0 offen offset:64 lds   // 000000005810: E05D1040 80050020
	s_add_i32 m0, m0, 0x3c0                                    // 000000005818: 817CFF7C 000003C0
	v_mfma_f32_16x16x32_bf16 v[42:45], a[80:83], a[8:11], v[42:45]// 000000005820: D3B5002A 1CAA1150
	v_mul_f32_e32 v16, s5, v16                                 // 000000005828: 0A202005
	v_exp_f32_e32 v16, v16                                     // 00000000582C: 7E204110
	v_mfma_f32_16x16x32_bf16 v[42:45], a[84:87], a[12:15], v[42:45]// 000000005830: D3B5002A 1CAA1954
	v_add_u32_e32 v26, s73, v26                                // 000000005838: 68343449
	ds_read_b128 a[72:75], v21 offset:18432                    // 00000000583C: DBFE4800 48000015
	ds_read_b128 a[76:79], v21 offset:19456                    // 000000005844: DBFE4C00 4C000015
	v_fma_f32 v34, v34, s5, -v29                               // 00000000584C: D1CB0022 84740B22
	v_mfma_f32_16x16x32_bf16 v[42:45], a[88:91], a[16:19], v[42:45]// 000000005854: D3B5002A 1CAA2158
	ds_read_b128 a[80:83], v21 offset:20480                    // 00000000585C: DBFE5000 50000015
	ds_read_b128 a[84:87], v21 offset:21504                    // 000000005864: DBFE5400 54000015
	v_fma_f32 v35, v35, s5, -v29                               // 00000000586C: D1CB0023 84740B23
	v_mfma_f32_16x16x32_bf16 v[42:45], a[92:95], a[20:23], v[42:45]// 000000005874: D3B5002A 1CAA295C
	buffer_load_dwordx4 v32, s[20:23], 0 offen offset:128 lds  // 00000000587C: E05D1080 80050020
	s_add_i32 m0, m0, 0x3c0                                    // 000000005884: 817CFF7C 000003C0
	v_mfma_f32_16x16x32_bf16 v[42:45], a[96:99], a[24:27], v[42:45]// 00000000588C: D3B5002A 1CAA3160
	v_fma_f32 v36, v36, s5, -v29                               // 000000005894: D1CB0024 84740B24
	v_fma_f32 v37, v37, s5, -v29                               // 00000000589C: D1CB0025 84740B25
	v_mfma_f32_16x16x32_bf16 v[42:45], a[100:103], a[28:31], v[42:45]// 0000000058A4: D3B5002A 1CAA3964
	ds_read_b128 a[88:91], v21 offset:22528                    // 0000000058AC: DBFE5800 58000015
	ds_read_b128 a[92:95], v21 offset:23552                    // 0000000058B4: DBFE5C00 5C000015
	v_fma_f32 v38, v38, s5, -v29                               // 0000000058BC: D1CB0026 84740B26
	v_mfma_f32_16x16x32_bf16 v[42:45], a[104:107], a[32:35], v[42:45]// 0000000058C4: D3B5002A 1CAA4168
	ds_read_b128 a[96:99], v21 offset:24576                    // 0000000058CC: DBFE6000 60000015
	ds_read_b128 a[100:103], v21 offset:25600                  // 0000000058D4: DBFE6400 64000015
	v_fma_f32 v39, v39, s5, -v29                               // 0000000058DC: D1CB0027 84740B27
	v_mfma_f32_16x16x32_bf16 v[42:45], a[108:111], a[36:39], v[42:45]// 0000000058E4: D3B5002A 1CAA496C
	buffer_load_dwordx4 v32, s[20:23], 0 offen offset:192 lds  // 0000000058EC: E05D10C0 80050020
	s_add_i32 m0, m0, 0x3c0                                    // 0000000058F4: 817CFF7C 000003C0
	v_mfma_f32_16x16x32_bf16 v[42:45], a[112:115], a[40:43], v[42:45]// 0000000058FC: D3B5002A 1CAA5170
	v_fma_f32 v40, v40, s5, -v29                               // 000000005904: D1CB0028 84740B28
	v_fma_f32 v41, v41, s5, -v29                               // 00000000590C: D1CB0029 84740B29
	v_mfma_f32_16x16x32_bf16 v[42:45], a[116:119], a[44:47], v[42:45]// 000000005914: D3B5002A 1CAA5974
	v_exp_f32_e32 v34, v34                                     // 00000000591C: 7E444122
	v_mfma_f32_16x16x32_bf16 v[42:45], a[120:123], a[48:51], v[42:45]// 000000005920: D3B5002A 1CAA6178
	ds_read_b128 a[104:107], v21 offset:26624                  // 000000005928: DBFE6800 68000015
	ds_read_b128 a[108:111], v21 offset:27648                  // 000000005930: DBFE6C00 6C000015
	v_exp_f32_e32 v35, v35                                     // 000000005938: 7E464123
	v_mfma_f32_16x16x32_bf16 v[42:45], a[124:127], a[52:55], v[42:45]// 00000000593C: D3B5002A 1CAA697C
	buffer_load_dwordx4 v32, s[20:23], 0 offen offset:256 lds  // 000000005944: E05D1100 80050020
	s_add_i32 m0, m0, 0x3c0                                    // 00000000594C: 817CFF7C 000003C0
	v_mfma_f32_16x16x32_bf16 v[42:45], a[128:131], a[56:59], v[42:45]// 000000005954: D3B5002A 1CAA7180
	v_exp_f32_e32 v36, v36                                     // 00000000595C: 7E484124
	v_mfma_f32_16x16x32_bf16 v[42:45], a[132:135], a[60:63], v[42:45]// 000000005960: D3B5002A 1CAA7984
	ds_read_b128 a[112:115], v21 offset:28672                  // 000000005968: DBFE7000 70000015
	ds_read_b128 a[116:119], v21 offset:29696                  // 000000005970: DBFE7400 74000015
	v_exp_f32_e32 v37, v37                                     // 000000005978: 7E4A4125
	v_mfma_f32_16x16x32_bf16 v[42:45], a[136:139], a[64:67], v[42:45]// 00000000597C: D3B5002A 1CAA8188
	ds_read_b128 a[120:123], v21 offset:30720                  // 000000005984: DBFE7800 78000015
	ds_read_b128 a[124:127], v21 offset:31744                  // 00000000598C: DBFE7C00 7C000015
	v_exp_f32_e32 v38, v38                                     // 000000005994: 7E4C4126
	v_mfma_f32_16x16x32_bf16 v[42:45], a[140:143], a[68:71], v[42:45]// 000000005998: D3B5002A 1CAA898C
	ds_read_b128 a[128:131], v21 offset:32768                  // 0000000059A0: DBFE8000 80000015
	ds_read_b128 a[132:135], v21 offset:33792                  // 0000000059A8: DBFE8400 84000015
	v_exp_f32_e32 v39, v39                                     // 0000000059B0: 7E4E4127
	ds_read_b128 a[136:139], v21 offset:34816                  // 0000000059B4: DBFE8800 88000015
	ds_read_b128 a[140:143], v21 offset:35840                  // 0000000059BC: DBFE8C00 8C000015
	v_exp_f32_e32 v40, v40                                     // 0000000059C4: 7E504128
	v_exp_f32_e32 v41, v41                                     // 0000000059C8: 7E524129
	v_mul_f32_e32 v4, v16, v4                                  // 0000000059CC: 0A080910
	v_mov_b32_e32 v28, v34                                     // 0000000059D0: 7E380322
	v_add_f32_e32 v28, v35, v28                                // 0000000059D4: 02383923
	v_add_f32_e32 v28, v36, v28                                // 0000000059D8: 02383924
	v_add_f32_e32 v28, v37, v28                                // 0000000059DC: 02383925
	v_add_f32_e32 v28, v38, v28                                // 0000000059E0: 02383926
	v_add_f32_e32 v28, v39, v28                                // 0000000059E4: 02383927
	v_add_f32_e32 v28, v40, v28                                // 0000000059E8: 02383928
	v_add_f32_e32 v28, v41, v28                                // 0000000059EC: 02383929
	v_add_f32_e32 v4, v28, v4                                  // 0000000059F0: 0208091C
	v_cvt_pk_bf16_f32 v34, v34, v35                            // 0000000059F4: D2680022 00024722
	v_cvt_pk_bf16_f32 v35, v36, v37                            // 0000000059FC: D2680023 00024B24
	v_cvt_pk_bf16_f32 v36, v38, v39                            // 000000005A04: D2680024 00024F26
	v_cvt_pk_bf16_f32 v37, v40, v41                            // 000000005A0C: D2680025 00025328
	s_nop 0                                                    // 000000005A14: BF800000
	v_permlane32_swap_b32_e32 v34, v36                         // 000000005A18: 7E44B524
	v_permlane32_swap_b32_e32 v35, v37                         // 000000005A1C: 7E46B525
	s_nop 0                                                    // 000000005A20: BF800000
	v_permlane16_swap_b32_e32 v34, v36                         // 000000005A24: 7E44B324
	v_permlane16_swap_b32_e32 v35, v37                         // 000000005A28: 7E46B325
	s_waitcnt lgkmcnt(0)                                       // 000000005A2C: BF8CC07F
	v_mfma_f32_16x16x32_bf16 v[46:49], a[72:75], a[0:3], 0     // 000000005A30: D3B5002E 1A020148
	v_mul_f32_e32 v50, v16, v50                                // 000000005A38: 0A646510
	v_mul_f32_e32 v51, v16, v51                                // 000000005A3C: 0A666710
	ds_read_b64_tr_b16 a[144:145], v12                         // 000000005A40: DBC60000 9000000C
	ds_read_b64_tr_b16 a[146:147], v12 offset:256              // 000000005A48: DBC60100 9200000C
	v_mfma_f32_16x16x32_bf16 v[46:49], a[76:79], a[4:7], v[46:49]// 000000005A50: D3B5002E 1CBA094C
	buffer_load_dwordx4 v32, s[20:23], 0 offen offset:320 lds  // 000000005A58: E05D1140 80050020
	s_add_i32 m0, m0, 0x3c0                                    // 000000005A60: 817CFF7C 000003C0
	v_mul_f32_e32 v52, v16, v52                                // 000000005A68: 0A686910
	v_mul_f32_e32 v53, v16, v53                                // 000000005A6C: 0A6A6B10
	v_mfma_f32_16x16x32_bf16 v[46:49], a[80:83], a[8:11], v[46:49]// 000000005A70: D3B5002E 1CBA1150
	v_mul_f32_e32 v54, v16, v54                                // 000000005A78: 0A6C6D10
	v_mul_f32_e32 v55, v16, v55                                // 000000005A7C: 0A6E6F10
	ds_read_b64_tr_b16 a[148:149], v13                         // 000000005A80: DBC60000 9400000D
	ds_read_b64_tr_b16 a[150:151], v13 offset:256              // 000000005A88: DBC60100 9600000D
	v_mfma_f32_16x16x32_bf16 v[46:49], a[84:87], a[12:15], v[46:49]// 000000005A90: D3B5002E 1CBA1954
	v_mul_f32_e32 v56, v16, v56                                // 000000005A98: 0A707110
	v_mul_f32_e32 v57, v16, v57                                // 000000005A9C: 0A727310
	ds_read_b64_tr_b16 a[152:153], v12 offset:1024             // 000000005AA0: DBC60400 9800000C
	ds_read_b64_tr_b16 a[154:155], v12 offset:1280             // 000000005AA8: DBC60500 9A00000C
	v_mfma_f32_16x16x32_bf16 v[46:49], a[88:91], a[16:19], v[46:49]// 000000005AB0: D3B5002E 1CBA2158
	v_mul_f32_e32 v58, v16, v58                                // 000000005AB8: 0A747510
	v_mul_f32_e32 v59, v16, v59                                // 000000005ABC: 0A767710
	ds_read_b64_tr_b16 a[156:157], v13 offset:1024             // 000000005AC0: DBC60400 9C00000D
	ds_read_b64_tr_b16 a[158:159], v13 offset:1280             // 000000005AC8: DBC60500 9E00000D
	v_mfma_f32_16x16x32_bf16 v[46:49], a[92:95], a[20:23], v[46:49]// 000000005AD0: D3B5002E 1CBA295C
	v_mul_f32_e32 v60, v16, v60                                // 000000005AD8: 0A787910
	v_mul_f32_e32 v61, v16, v61                                // 000000005ADC: 0A7A7B10
	ds_read_b64_tr_b16 a[160:161], v12 offset:2048             // 000000005AE0: DBC60800 A000000C
	ds_read_b64_tr_b16 a[162:163], v12 offset:2304             // 000000005AE8: DBC60900 A200000C
	v_mfma_f32_16x16x32_bf16 v[46:49], a[96:99], a[24:27], v[46:49]// 000000005AF0: D3B5002E 1CBA3160
	v_mul_f32_e32 v62, v16, v62                                // 000000005AF8: 0A7C7D10
	v_mul_f32_e32 v63, v16, v63                                // 000000005AFC: 0A7E7F10
	ds_read_b64_tr_b16 a[164:165], v13 offset:2048             // 000000005B00: DBC60800 A400000D
	ds_read_b64_tr_b16 a[166:167], v13 offset:2304             // 000000005B08: DBC60900 A600000D
	v_mfma_f32_16x16x32_bf16 v[46:49], a[100:103], a[28:31], v[46:49]// 000000005B10: D3B5002E 1CBA3964
	buffer_load_dwordx4 v32, s[20:23], 0 offen offset:384 lds  // 000000005B18: E05D1180 80050020
	s_add_i32 m0, m0, 0x3c0                                    // 000000005B20: 817CFF7C 000003C0
	v_mfma_f32_16x16x32_bf16 v[46:49], a[104:107], a[32:35], v[46:49]// 000000005B28: D3B5002E 1CBA4168
	v_mul_f32_e32 v64, v16, v64                                // 000000005B30: 0A808110
	v_mul_f32_e32 v65, v16, v65                                // 000000005B34: 0A828310
	ds_read_b64_tr_b16 a[168:169], v12 offset:3072             // 000000005B38: DBC60C00 A800000C
	ds_read_b64_tr_b16 a[170:171], v12 offset:3328             // 000000005B40: DBC60D00 AA00000C
	v_mfma_f32_16x16x32_bf16 v[46:49], a[108:111], a[36:39], v[46:49]// 000000005B48: D3B5002E 1CBA496C
	v_mul_f32_e32 v66, v16, v66                                // 000000005B50: 0A848510
	v_mul_f32_e32 v67, v16, v67                                // 000000005B54: 0A868710
	ds_read_b64_tr_b16 a[172:173], v13 offset:3072             // 000000005B58: DBC60C00 AC00000D
	ds_read_b64_tr_b16 a[174:175], v13 offset:3328             // 000000005B60: DBC60D00 AE00000D
	v_mfma_f32_16x16x32_bf16 v[46:49], a[112:115], a[40:43], v[46:49]// 000000005B68: D3B5002E 1CBA5170
	v_mul_f32_e32 v68, v16, v68                                // 000000005B70: 0A888910
	v_mul_f32_e32 v69, v16, v69                                // 000000005B74: 0A8A8B10
	ds_read_b64_tr_b16 a[176:177], v12 offset:4096             // 000000005B78: DBC61000 B000000C
	ds_read_b64_tr_b16 a[178:179], v12 offset:4352             // 000000005B80: DBC61100 B200000C
	v_mfma_f32_16x16x32_bf16 v[46:49], a[116:119], a[44:47], v[46:49]// 000000005B88: D3B5002E 1CBA5974
	buffer_load_dwordx4 v32, s[20:23], 0 offen offset:448 lds  // 000000005B90: E05D11C0 80050020
	s_add_i32 m0, m0, 0x3c0                                    // 000000005B98: 817CFF7C 000003C0
	v_mul_f32_e32 v70, v16, v70                                // 000000005BA0: 0A8C8D10
	v_mul_f32_e32 v71, v16, v71                                // 000000005BA4: 0A8E8F10
	v_mfma_f32_16x16x32_bf16 v[46:49], a[120:123], a[48:51], v[46:49]// 000000005BA8: D3B5002E 1CBA6178
	v_mul_f32_e32 v72, v16, v72                                // 000000005BB0: 0A909110
	v_mul_f32_e32 v73, v16, v73                                // 000000005BB4: 0A929310
	ds_read_b64_tr_b16 a[180:181], v13 offset:4096             // 000000005BB8: DBC61000 B400000D
	ds_read_b64_tr_b16 a[182:183], v13 offset:4352             // 000000005BC0: DBC61100 B600000D
	v_mfma_f32_16x16x32_bf16 v[46:49], a[124:127], a[52:55], v[46:49]// 000000005BC8: D3B5002E 1CBA697C
	v_mul_f32_e32 v74, v16, v74                                // 000000005BD0: 0A949510
	v_mul_f32_e32 v75, v16, v75                                // 000000005BD4: 0A969710
	ds_read_b64_tr_b16 a[184:185], v12 offset:5120             // 000000005BD8: DBC61400 B800000C
	ds_read_b64_tr_b16 a[186:187], v12 offset:5376             // 000000005BE0: DBC61500 BA00000C
	v_mfma_f32_16x16x32_bf16 v[46:49], a[128:131], a[56:59], v[46:49]// 000000005BE8: D3B5002E 1CBA7180
	v_mul_f32_e32 v76, v16, v76                                // 000000005BF0: 0A989910
	v_mul_f32_e32 v77, v16, v77                                // 000000005BF4: 0A9A9B10
	ds_read_b64_tr_b16 a[188:189], v13 offset:5120             // 000000005BF8: DBC61400 BC00000D
	ds_read_b64_tr_b16 a[190:191], v13 offset:5376             // 000000005C00: DBC61500 BE00000D
	v_mfma_f32_16x16x32_bf16 v[46:49], a[132:135], a[60:63], v[46:49]// 000000005C08: D3B5002E 1CBA7984
	buffer_load_dwordx4 v32, s[20:23], 0 offen offset:512 lds  // 000000005C10: E05D1200 80050020
	s_add_i32 m0, m0, 0x3c0                                    // 000000005C18: 817CFF7C 000003C0
	v_mfma_f32_16x16x32_bf16 v[46:49], a[136:139], a[64:67], v[46:49]// 000000005C20: D3B5002E 1CBA8188
	v_mul_f32_e32 v78, v16, v78                                // 000000005C28: 0A9C9D10
	v_mul_f32_e32 v79, v16, v79                                // 000000005C2C: 0A9E9F10
	ds_read_b64_tr_b16 a[192:193], v12 offset:6144             // 000000005C30: DBC61800 C000000C
	ds_read_b64_tr_b16 a[194:195], v12 offset:6400             // 000000005C38: DBC61900 C200000C
	ds_read_b64_tr_b16 a[196:197], v13 offset:6144             // 000000005C40: DBC61800 C400000D
	ds_read_b64_tr_b16 a[198:199], v13 offset:6400             // 000000005C48: DBC61900 C600000D
	ds_read_b64_tr_b16 a[200:201], v12 offset:7168             // 000000005C50: DBC61C00 C800000C
	ds_read_b64_tr_b16 a[202:203], v12 offset:7424             // 000000005C58: DBC61D00 CA00000C
	ds_read_b64_tr_b16 a[204:205], v13 offset:7168             // 000000005C60: DBC61C00 CC00000D
	ds_read_b64_tr_b16 a[206:207], v13 offset:7424             // 000000005C68: DBC61D00 CE00000D
	v_mov_b32_e32 v30, v16                                     // 000000005C70: 7E3C0310
	v_mov_b32_e32 v31, v16                                     // 000000005C74: 7E3E0310
	v_pk_mul_f32 v[80:81], v[30:31], v[80:81]                  // 000000005C78: D3B14050 1802A11E
	v_pk_mul_f32 v[82:83], v[30:31], v[82:83]                  // 000000005C80: D3B14052 1802A51E
	v_pk_mul_f32 v[84:85], v[30:31], v[84:85]                  // 000000005C88: D3B14054 1802A91E
	v_pk_mul_f32 v[86:87], v[30:31], v[86:87]                  // 000000005C90: D3B14056 1802AD1E
	v_pk_mul_f32 v[88:89], v[30:31], v[88:89]                  // 000000005C98: D3B14058 1802B11E
	v_pk_mul_f32 v[90:91], v[30:31], v[90:91]                  // 000000005CA0: D3B1405A 1802B51E
	v_pk_mul_f32 v[92:93], v[30:31], v[92:93]                  // 000000005CA8: D3B1405C 1802B91E
	v_pk_mul_f32 v[94:95], v[30:31], v[94:95]                  // 000000005CB0: D3B1405E 1802BD1E
	v_pk_mul_f32 v[96:97], v[30:31], v[96:97]                  // 000000005CB8: D3B14060 1802C11E
	v_pk_mul_f32 v[98:99], v[30:31], v[98:99]                  // 000000005CC0: D3B14062 1802C51E
	v_pk_mul_f32 v[100:101], v[30:31], v[100:101]              // 000000005CC8: D3B14064 1802C91E
	v_pk_mul_f32 v[102:103], v[30:31], v[102:103]              // 000000005CD0: D3B14066 1802CD1E
	v_pk_mul_f32 v[104:105], v[30:31], v[104:105]              // 000000005CD8: D3B14068 1802D11E
	v_pk_mul_f32 v[106:107], v[30:31], v[106:107]              // 000000005CE0: D3B1406A 1802D51E
	v_pk_mul_f32 v[108:109], v[30:31], v[108:109]              // 000000005CE8: D3B1406C 1802D91E
	v_pk_mul_f32 v[110:111], v[30:31], v[110:111]              // 000000005CF0: D3B1406E 1802DD1E
	v_pk_mul_f32 v[112:113], v[30:31], v[112:113]              // 000000005CF8: D3B14070 1802E11E
	v_pk_mul_f32 v[114:115], v[30:31], v[114:115]              // 000000005D00: D3B14072 1802E51E
	v_pk_mul_f32 v[116:117], v[30:31], v[116:117]              // 000000005D08: D3B14074 1802E91E
	v_pk_mul_f32 v[118:119], v[30:31], v[118:119]              // 000000005D10: D3B14076 1802ED1E
	v_pk_mul_f32 v[120:121], v[30:31], v[120:121]              // 000000005D18: D3B14078 1802F11E
	v_pk_mul_f32 v[122:123], v[30:31], v[122:123]              // 000000005D20: D3B1407A 1802F51E
	v_pk_mul_f32 v[124:125], v[30:31], v[124:125]              // 000000005D28: D3B1407C 1802F91E
	v_pk_mul_f32 v[126:127], v[30:31], v[126:127]              // 000000005D30: D3B1407E 1802FD1E
	v_pk_mul_f32 v[128:129], v[30:31], v[128:129]              // 000000005D38: D3B14080 1803011E
	v_pk_mul_f32 v[130:131], v[30:31], v[130:131]              // 000000005D40: D3B14082 1803051E
	v_pk_mul_f32 v[132:133], v[30:31], v[132:133]              // 000000005D48: D3B14084 1803091E
	v_pk_mul_f32 v[134:135], v[30:31], v[134:135]              // 000000005D50: D3B14086 18030D1E
	v_pk_mul_f32 v[136:137], v[30:31], v[136:137]              // 000000005D58: D3B14088 1803111E
	v_pk_mul_f32 v[138:139], v[30:31], v[138:139]              // 000000005D60: D3B1408A 1803151E
	v_pk_mul_f32 v[140:141], v[30:31], v[140:141]              // 000000005D68: D3B1408C 1803191E
	v_pk_mul_f32 v[142:143], v[30:31], v[142:143]              // 000000005D70: D3B1408E 18031D1E
	v_pk_mul_f32 v[144:145], v[30:31], v[144:145]              // 000000005D78: D3B14090 1803211E
	v_pk_mul_f32 v[146:147], v[30:31], v[146:147]              // 000000005D80: D3B14092 1803251E
	v_pk_mul_f32 v[148:149], v[30:31], v[148:149]              // 000000005D88: D3B14094 1803291E
	v_pk_mul_f32 v[150:151], v[30:31], v[150:151]              // 000000005D90: D3B14096 18032D1E
	v_pk_mul_f32 v[152:153], v[30:31], v[152:153]              // 000000005D98: D3B14098 1803311E
	v_pk_mul_f32 v[154:155], v[30:31], v[154:155]              // 000000005DA0: D3B1409A 1803351E
	v_pk_mul_f32 v[156:157], v[30:31], v[156:157]              // 000000005DA8: D3B1409C 1803391E
	v_pk_mul_f32 v[158:159], v[30:31], v[158:159]              // 000000005DB0: D3B1409E 18033D1E
	v_pk_mul_f32 v[160:161], v[30:31], v[160:161]              // 000000005DB8: D3B140A0 1803411E
	v_pk_mul_f32 v[162:163], v[30:31], v[162:163]              // 000000005DC0: D3B140A2 1803451E
	v_pk_mul_f32 v[164:165], v[30:31], v[164:165]              // 000000005DC8: D3B140A4 1803491E
	v_pk_mul_f32 v[166:167], v[30:31], v[166:167]              // 000000005DD0: D3B140A6 18034D1E
	v_pk_mul_f32 v[168:169], v[30:31], v[168:169]              // 000000005DD8: D3B140A8 1803511E
	v_pk_mul_f32 v[170:171], v[30:31], v[170:171]              // 000000005DE0: D3B140AA 1803551E
	v_pk_mul_f32 v[172:173], v[30:31], v[172:173]              // 000000005DE8: D3B140AC 1803591E
	v_pk_mul_f32 v[174:175], v[30:31], v[174:175]              // 000000005DF0: D3B140AE 18035D1E
	v_pk_mul_f32 v[176:177], v[30:31], v[176:177]              // 000000005DF8: D3B140B0 1803611E
	v_mfma_f32_16x16x32_bf16 v[46:49], a[140:143], a[68:71], v[46:49]// 000000005E00: D3B5002E 1CBA898C
	s_addk_i32 s70, 0x1                                        // 000000005E08: B7460001
	s_cmp_lt_i32 s70, s71                                      // 000000005E0C: BF044746
	s_cbranch_scc0 label_3B18                                  // 000000005E10: BF840001
	s_branch label_1554                                        // 000000005E14: BF82F68F

0000000000005e18 <label_3B18>:
	s_nop 0                                                    // 000000005E18: BF800000
	s_nop 0                                                    // 000000005E1C: BF800000
	s_branch label_63F0                                        // 000000005E20: BF820A33

0000000000005e24 <label_3B24>:
	s_waitcnt lgkmcnt(0)                                       // 000000005E24: BF8CC07F
	v_mul_u32_u24_e64 v32, v22, s68                            // 000000005E28: D1080020 00008916
	v_add_u32_e32 v32, v32, v1                                 // 000000005E30: 68400320
	v_mfma_f32_16x16x32_bf16 v[50:53], a[144:147], v[34:37], v[50:53]// 000000005E34: D3B50032 0CCA4590
	v_mov_b32_e32 v29, v42                                     // 000000005E3C: 7E3A032A
	v_max3_f32 v29, v42, v43, v29                              // 000000005E40: D1D3001D 0476572A
	v_mfma_f32_16x16x32_bf16 v[54:57], a[148:151], v[34:37], v[54:57]// 000000005E48: D3B50036 0CDA4594
	ds_read_b64_tr_b16 a[144:145], v12 offset:8192             // 000000005E50: DBC62000 9000000C
	ds_read_b64_tr_b16 a[146:147], v12 offset:8448             // 000000005E58: DBC62100 9200000C
	v_mfma_f32_16x16x32_bf16 v[58:61], a[152:155], v[34:37], v[58:61]// 000000005E60: D3B5003A 0CEA4598
	v_max3_f32 v29, v44, v45, v29                              // 000000005E68: D1D3001D 04765B2C
	v_max3_f32 v29, v46, v47, v29                              // 000000005E70: D1D3001D 04765F2E
	v_mfma_f32_16x16x32_bf16 v[62:65], a[156:159], v[34:37], v[62:65]// 000000005E78: D3B5003E 0CFA459C
	ds_read_b64_tr_b16 a[148:149], v13 offset:8192             // 000000005E80: DBC62000 9400000D
	ds_read_b64_tr_b16 a[150:151], v13 offset:8448             // 000000005E88: DBC62100 9600000D
	v_mfma_f32_16x16x32_bf16 v[66:69], a[160:163], v[34:37], v[66:69]// 000000005E90: D3B50042 0D0A45A0
	v_max3_f32 v29, v48, v49, v29                              // 000000005E98: D1D3001D 04766330
	v_mov_b32_e32 v28, v29                                     // 000000005EA0: 7E38031D
	v_mfma_f32_16x16x32_bf16 v[70:73], a[164:167], v[34:37], v[70:73]// 000000005EA4: D3B50046 0D1A45A4
	ds_read_b64_tr_b16 a[152:153], v12 offset:9216             // 000000005EAC: DBC62400 9800000C
	ds_read_b64_tr_b16 a[154:155], v12 offset:9472             // 000000005EB4: DBC62500 9A00000C
	v_mfma_f32_16x16x32_bf16 v[74:77], a[168:171], v[34:37], v[74:77]// 000000005EBC: D3B5004A 0D2A45A8
	v_mov_b32_e32 v29, v29                                     // 000000005EC4: 7E3A031D
	s_nop 1                                                    // 000000005EC8: BF800001
	v_mfma_f32_16x16x32_bf16 v[78:81], a[172:175], v[34:37], v[78:81]// 000000005ECC: D3B5004E 0D3A45AC
	ds_read_b64_tr_b16 a[156:157], v13 offset:9216             // 000000005ED4: DBC62400 9C00000D
	ds_read_b64_tr_b16 a[158:159], v13 offset:9472             // 000000005EDC: DBC62500 9E00000D
	v_mfma_f32_16x16x32_bf16 v[82:85], a[176:179], v[34:37], v[82:85]// 000000005EE4: D3B50052 0D4A45B0
	v_permlane16_swap_b32_e32 v28, v29                         // 000000005EEC: 7E38B31D
	v_mfma_f32_16x16x32_bf16 v[86:89], a[180:183], v[34:37], v[86:89]// 000000005EF0: D3B50056 0D5A45B4
	ds_read_b64_tr_b16 a[160:161], v12 offset:10240            // 000000005EF8: DBC62800 A000000C
	ds_read_b64_tr_b16 a[162:163], v12 offset:10496            // 000000005F00: DBC62900 A200000C
	v_mfma_f32_16x16x32_bf16 v[90:93], a[184:187], v[34:37], v[90:93]// 000000005F08: D3B5005A 0D6A45B8
	v_mov_b32_e32 v31, v28                                     // 000000005F10: 7E3E031C
	v_mov_b32_e32 v30, v29                                     // 000000005F14: 7E3C031D
	v_mfma_f32_16x16x32_bf16 v[94:97], a[188:191], v[34:37], v[94:97]// 000000005F18: D3B5005E 0D7A45BC
	ds_read_b64_tr_b16 a[164:165], v13 offset:10240            // 000000005F20: DBC62800 A400000D
	ds_read_b64_tr_b16 a[166:167], v13 offset:10496            // 000000005F28: DBC62900 A600000D
	v_mfma_f32_16x16x32_bf16 v[98:101], a[192:195], v[34:37], v[98:101]// 000000005F30: D3B50062 0D8A45C0
	s_nop 1                                                    // 000000005F38: BF800001
	v_permlane32_swap_b32_e32 v28, v29                         // 000000005F3C: 7E38B51D
	v_mfma_f32_16x16x32_bf16 v[102:105], a[196:199], v[34:37], v[102:105]// 000000005F40: D3B50066 0D9A45C4
	ds_read_b64_tr_b16 a[168:169], v12 offset:11264            // 000000005F48: DBC62C00 A800000C
	ds_read_b64_tr_b16 a[170:171], v12 offset:11520            // 000000005F50: DBC62D00 AA00000C
	v_mfma_f32_16x16x32_bf16 v[106:109], a[200:203], v[34:37], v[106:109]// 000000005F58: D3B5006A 0DAA45C8
	v_permlane32_swap_b32_e32 v30, v31                         // 000000005F60: 7E3CB51F
	v_mfma_f32_16x16x32_bf16 v[110:113], a[204:207], v[34:37], v[110:113]// 000000005F64: D3B5006E 0DBA45CC
	ds_read_b64_tr_b16 a[172:173], v13 offset:11264            // 000000005F6C: DBC62C00 AC00000D
	ds_read_b64_tr_b16 a[174:175], v13 offset:11520            // 000000005F74: DBC62D00 AE00000D
	ds_read_b64_tr_b16 a[176:177], v12 offset:12288            // 000000005F7C: DBC63000 B000000C
	ds_read_b64_tr_b16 a[178:179], v12 offset:12544            // 000000005F84: DBC63100 B200000C
	ds_read_b64_tr_b16 a[180:181], v13 offset:12288            // 000000005F8C: DBC63000 B400000D
	ds_read_b64_tr_b16 a[182:183], v13 offset:12544            // 000000005F94: DBC63100 B600000D
	ds_read_b64_tr_b16 a[184:185], v12 offset:13312            // 000000005F9C: DBC63400 B800000C
	ds_read_b64_tr_b16 a[186:187], v12 offset:13568            // 000000005FA4: DBC63500 BA00000C
	ds_read_b64_tr_b16 a[188:189], v13 offset:13312            // 000000005FAC: DBC63400 BC00000D
	ds_read_b64_tr_b16 a[190:191], v13 offset:13568            // 000000005FB4: DBC63500 BE00000D
	s_waitcnt lgkmcnt(0)                                       // 000000005FBC: BF8CC07F
	v_mfma_f32_16x16x32_bf16 v[114:117], a[144:147], v[34:37], v[114:117]// 000000005FC0: D3B50072 0DCA4590
	ds_read_b64_tr_b16 a[192:193], v12 offset:14336            // 000000005FC8: DBC63800 C000000C
	ds_read_b64_tr_b16 a[194:195], v12 offset:14592            // 000000005FD0: DBC63900 C200000C
	v_mfma_f32_16x16x32_bf16 v[118:121], a[148:151], v[34:37], v[118:121]// 000000005FD8: D3B50076 0DDA4594
	s_waitcnt vmcnt(10)                                        // 000000005FE0: BF8C0F7A
	s_barrier                                                  // 000000005FE4: BF8A0000
	ds_read_b128 a[72:75], v18                                 // 000000005FE8: DBFE0000 48000012
	ds_read_b128 a[76:79], v18 offset:1024                     // 000000005FF0: DBFE0400 4C000012
	v_mfma_f32_16x16x32_bf16 v[122:125], a[152:155], v[34:37], v[122:125]// 000000005FF8: D3B5007A 0DEA4598
	ds_read_b64_tr_b16 a[196:197], v13 offset:14336            // 000000006000: DBC63800 C400000D
	ds_read_b64_tr_b16 a[198:199], v13 offset:14592            // 000000006008: DBC63900 C600000D
	v_mfma_f32_16x16x32_bf16 v[126:129], a[156:159], v[34:37], v[126:129]// 000000006010: D3B5007E 0DFA459C
	ds_read_b128 a[80:83], v18 offset:2048                     // 000000006018: DBFE0800 50000012
	ds_read_b128 a[84:87], v18 offset:3072                     // 000000006020: DBFE0C00 54000012
	v_mfma_f32_16x16x32_bf16 v[130:133], a[160:163], v[34:37], v[130:133]// 000000006028: D3B50082 0E0A45A0
	ds_read_b64_tr_b16 a[200:201], v12 offset:15360            // 000000006030: DBC63C00 C800000C
	ds_read_b64_tr_b16 a[202:203], v12 offset:15616            // 000000006038: DBC63D00 CA00000C
	v_mfma_f32_16x16x32_bf16 v[134:137], a[164:167], v[34:37], v[134:137]// 000000006040: D3B50086 0E1A45A4
	ds_read_b128 a[88:91], v18 offset:4096                     // 000000006048: DBFE1000 58000012
	ds_read_b128 a[92:95], v18 offset:5120                     // 000000006050: DBFE1400 5C000012
	v_mfma_f32_16x16x32_bf16 v[138:141], a[168:171], v[34:37], v[138:141]// 000000006058: D3B5008A 0E2A45A8
	ds_read_b64_tr_b16 a[204:205], v13 offset:15360            // 000000006060: DBC63C00 CC00000D
	ds_read_b64_tr_b16 a[206:207], v13 offset:15616            // 000000006068: DBC63D00 CE00000D
	v_mfma_f32_16x16x32_bf16 v[142:145], a[172:175], v[34:37], v[142:145]// 000000006070: D3B5008E 0E3A45AC
	ds_read_b128 a[96:99], v18 offset:6144                     // 000000006078: DBFE1800 60000012
	ds_read_b128 a[100:103], v18 offset:7168                   // 000000006080: DBFE1C00 64000012
	v_mfma_f32_16x16x32_bf16 v[146:149], a[176:179], v[34:37], v[146:149]// 000000006088: D3B50092 0E4A45B0
	v_max3_f32 v29, v28, v29, v29                              // 000000006090: D1D3001D 04763B1C
	v_max3_f32 v29, v30, v31, v29                              // 000000006098: D1D3001D 04763F1E
	v_mfma_f32_16x16x32_bf16 v[150:153], a[180:183], v[34:37], v[150:153]// 0000000060A0: D3B50096 0E5A45B4
	ds_read_b128 a[104:107], v18 offset:8192                   // 0000000060A8: DBFE2000 68000012
	ds_read_b128 a[108:111], v18 offset:9216                   // 0000000060B0: DBFE2400 6C000012
	v_mfma_f32_16x16x32_bf16 v[154:157], a[184:187], v[34:37], v[154:157]// 0000000060B8: D3B5009A 0E6A45B8
	v_mov_b32_e32 v28, 0xff800000                              // 0000000060C0: 7E3802FF FF800000
	v_cmp_eq_u32_e64 s[36:37], v28, v2                         // 0000000060C8: D0CA0024 0002051C
	v_mfma_f32_16x16x32_bf16 v[158:161], a[188:191], v[34:37], v[158:161]// 0000000060D0: D3B5009E 0E7A45BC
	ds_read_b128 a[112:115], v18 offset:10240                  // 0000000060D8: DBFE2800 70000012
	ds_read_b128 a[116:119], v18 offset:11264                  // 0000000060E0: DBFE2C00 74000012
	v_mfma_f32_16x16x32_bf16 v[162:165], a[192:195], v[34:37], v[162:165]// 0000000060E8: D3B500A2 0E8A45C0
	v_max_f32_e32 v29, v29, v2                                 // 0000000060F0: 163A051D
	v_sub_f32_e32 v16, v2, v29                                 // 0000000060F4: 04203B02
	v_mfma_f32_16x16x32_bf16 v[166:169], a[196:199], v[34:37], v[166:169]// 0000000060F8: D3B500A6 0E9A45C4
	ds_read_b128 a[120:123], v18 offset:12288                  // 000000006100: DBFE3000 78000012
	ds_read_b128 a[124:127], v18 offset:13312                  // 000000006108: DBFE3400 7C000012
	v_mfma_f32_16x16x32_bf16 v[170:173], a[200:203], v[34:37], v[170:173]// 000000006110: D3B500AA 0EAA45C8
	v_cndmask_b32_e64 v16, v16, 0, s[36:37]                    // 000000006118: D1000010 00910110
	v_mov_b32_e32 v2, v29                                      // 000000006120: 7E04031D
	v_mfma_f32_16x16x32_bf16 v[174:177], a[204:207], v[34:37], v[174:177]// 000000006124: D3B500AE 0EBA45CC
	ds_read_b128 a[128:131], v18 offset:14336                  // 00000000612C: DBFE3800 80000012
	ds_read_b128 a[132:135], v18 offset:15360                  // 000000006134: DBFE3C00 84000012
	ds_read_b128 a[136:139], v18 offset:16384                  // 00000000613C: DBFE4000 88000012
	ds_read_b128 a[140:143], v18 offset:17408                  // 000000006144: DBFE4400 8C000012
	s_waitcnt lgkmcnt(0)                                       // 00000000614C: BF8CC07F
	v_mfma_f32_16x16x32_bf16 v[34:37], a[72:75], a[0:3], 0     // 000000006150: D3B50022 1A020148
	buffer_load_dword v24, v26, s[24:27], 0 offen              // 000000006158: E0501000 8006181A
	v_mul_f32_e32 v29, s5, v29                                 // 000000006160: 0A3A3A05
	s_mov_b32 s56, 0x14000                                     // 000000006164: BEB800FF 00014000
	s_mul_i32 s57, s7, 0x2400                                  // 00000000616C: 9239FF07 00002400
	s_add_u32 m0, s56, s57                                     // 000000006174: 807C3938
	buffer_load_dwordx4 v32, s[20:23], 0 offen lds             // 000000006178: E05D1000 80050020
	s_add_i32 m0, m0, 0x3c0                                    // 000000006180: 817CFF7C 000003C0
	v_mfma_f32_16x16x32_bf16 v[34:37], a[76:79], a[4:7], v[34:37]// 000000006188: D3B50022 1C8A094C
	buffer_load_dwordx4 v32, s[20:23], 0 offen offset:64 lds   // 000000006190: E05D1040 80050020
	s_add_i32 m0, m0, 0x3c0                                    // 000000006198: 817CFF7C 000003C0
	v_mfma_f32_16x16x32_bf16 v[34:37], a[80:83], a[8:11], v[34:37]// 0000000061A0: D3B50022 1C8A1150
	v_mul_f32_e32 v16, s5, v16                                 // 0000000061A8: 0A202005
	v_exp_f32_e32 v16, v16                                     // 0000000061AC: 7E204110
	v_mfma_f32_16x16x32_bf16 v[34:37], a[84:87], a[12:15], v[34:37]// 0000000061B0: D3B50022 1C8A1954
	v_add_u32_e32 v26, s73, v26                                // 0000000061B8: 68343449
	ds_read_b128 a[72:75], v18 offset:18432                    // 0000000061BC: DBFE4800 48000012
	ds_read_b128 a[76:79], v18 offset:19456                    // 0000000061C4: DBFE4C00 4C000012
	v_fma_f32 v42, v42, s5, -v29                               // 0000000061CC: D1CB002A 84740B2A
	v_mfma_f32_16x16x32_bf16 v[34:37], a[88:91], a[16:19], v[34:37]// 0000000061D4: D3B50022 1C8A2158
	ds_read_b128 a[80:83], v18 offset:20480                    // 0000000061DC: DBFE5000 50000012
	ds_read_b128 a[84:87], v18 offset:21504                    // 0000000061E4: DBFE5400 54000012
	v_fma_f32 v43, v43, s5, -v29                               // 0000000061EC: D1CB002B 84740B2B
	v_mfma_f32_16x16x32_bf16 v[34:37], a[92:95], a[20:23], v[34:37]// 0000000061F4: D3B50022 1C8A295C
	buffer_load_dwordx4 v32, s[20:23], 0 offen offset:128 lds  // 0000000061FC: E05D1080 80050020
	s_add_i32 m0, m0, 0x3c0                                    // 000000006204: 817CFF7C 000003C0
	v_mfma_f32_16x16x32_bf16 v[34:37], a[96:99], a[24:27], v[34:37]// 00000000620C: D3B50022 1C8A3160
	v_fma_f32 v44, v44, s5, -v29                               // 000000006214: D1CB002C 84740B2C
	v_fma_f32 v45, v45, s5, -v29                               // 00000000621C: D1CB002D 84740B2D
	v_mfma_f32_16x16x32_bf16 v[34:37], a[100:103], a[28:31], v[34:37]// 000000006224: D3B50022 1C8A3964
	ds_read_b128 a[88:91], v18 offset:22528                    // 00000000622C: DBFE5800 58000012
	ds_read_b128 a[92:95], v18 offset:23552                    // 000000006234: DBFE5C00 5C000012
	v_fma_f32 v46, v46, s5, -v29                               // 00000000623C: D1CB002E 84740B2E
	v_mfma_f32_16x16x32_bf16 v[34:37], a[104:107], a[32:35], v[34:37]// 000000006244: D3B50022 1C8A4168
	ds_read_b128 a[96:99], v18 offset:24576                    // 00000000624C: DBFE6000 60000012
	ds_read_b128 a[100:103], v18 offset:25600                  // 000000006254: DBFE6400 64000012
	v_fma_f32 v47, v47, s5, -v29                               // 00000000625C: D1CB002F 84740B2F
	v_mfma_f32_16x16x32_bf16 v[34:37], a[108:111], a[36:39], v[34:37]// 000000006264: D3B50022 1C8A496C
	buffer_load_dwordx4 v32, s[20:23], 0 offen offset:192 lds  // 00000000626C: E05D10C0 80050020
	s_add_i32 m0, m0, 0x3c0                                    // 000000006274: 817CFF7C 000003C0
	v_mfma_f32_16x16x32_bf16 v[34:37], a[112:115], a[40:43], v[34:37]// 00000000627C: D3B50022 1C8A5170
	v_fma_f32 v48, v48, s5, -v29                               // 000000006284: D1CB0030 84740B30
	v_fma_f32 v49, v49, s5, -v29                               // 00000000628C: D1CB0031 84740B31
	v_mfma_f32_16x16x32_bf16 v[34:37], a[116:119], a[44:47], v[34:37]// 000000006294: D3B50022 1C8A5974
	v_exp_f32_e32 v42, v42                                     // 00000000629C: 7E54412A
	v_mfma_f32_16x16x32_bf16 v[34:37], a[120:123], a[48:51], v[34:37]// 0000000062A0: D3B50022 1C8A6178
	ds_read_b128 a[104:107], v18 offset:26624                  // 0000000062A8: DBFE6800 68000012
	ds_read_b128 a[108:111], v18 offset:27648                  // 0000000062B0: DBFE6C00 6C000012
	v_exp_f32_e32 v43, v43                                     // 0000000062B8: 7E56412B
	v_mfma_f32_16x16x32_bf16 v[34:37], a[124:127], a[52:55], v[34:37]// 0000000062BC: D3B50022 1C8A697C
	buffer_load_dwordx4 v32, s[20:23], 0 offen offset:256 lds  // 0000000062C4: E05D1100 80050020
	s_add_i32 m0, m0, 0x3c0                                    // 0000000062CC: 817CFF7C 000003C0
	v_mfma_f32_16x16x32_bf16 v[34:37], a[128:131], a[56:59], v[34:37]// 0000000062D4: D3B50022 1C8A7180
	v_exp_f32_e32 v44, v44                                     // 0000000062DC: 7E58412C
	v_mfma_f32_16x16x32_bf16 v[34:37], a[132:135], a[60:63], v[34:37]// 0000000062E0: D3B50022 1C8A7984
	ds_read_b128 a[112:115], v18 offset:28672                  // 0000000062E8: DBFE7000 70000012
	ds_read_b128 a[116:119], v18 offset:29696                  // 0000000062F0: DBFE7400 74000012
	v_exp_f32_e32 v45, v45                                     // 0000000062F8: 7E5A412D
	v_mfma_f32_16x16x32_bf16 v[34:37], a[136:139], a[64:67], v[34:37]// 0000000062FC: D3B50022 1C8A8188
	ds_read_b128 a[120:123], v18 offset:30720                  // 000000006304: DBFE7800 78000012
	ds_read_b128 a[124:127], v18 offset:31744                  // 00000000630C: DBFE7C00 7C000012
	v_exp_f32_e32 v46, v46                                     // 000000006314: 7E5C412E
	v_mfma_f32_16x16x32_bf16 v[34:37], a[140:143], a[68:71], v[34:37]// 000000006318: D3B50022 1C8A898C
	ds_read_b128 a[128:131], v18 offset:32768                  // 000000006320: DBFE8000 80000012
	ds_read_b128 a[132:135], v18 offset:33792                  // 000000006328: DBFE8400 84000012
	v_exp_f32_e32 v47, v47                                     // 000000006330: 7E5E412F
	ds_read_b128 a[136:139], v18 offset:34816                  // 000000006334: DBFE8800 88000012
	ds_read_b128 a[140:143], v18 offset:35840                  // 00000000633C: DBFE8C00 8C000012
	v_exp_f32_e32 v48, v48                                     // 000000006344: 7E604130
	v_exp_f32_e32 v49, v49                                     // 000000006348: 7E624131
	v_mul_f32_e32 v4, v16, v4                                  // 00000000634C: 0A080910
	v_mov_b32_e32 v28, v42                                     // 000000006350: 7E38032A
	v_add_f32_e32 v28, v43, v28                                // 000000006354: 0238392B
	v_add_f32_e32 v28, v44, v28                                // 000000006358: 0238392C
	v_add_f32_e32 v28, v45, v28                                // 00000000635C: 0238392D
	v_add_f32_e32 v28, v46, v28                                // 000000006360: 0238392E
	v_add_f32_e32 v28, v47, v28                                // 000000006364: 0238392F
	v_add_f32_e32 v28, v48, v28                                // 000000006368: 02383930
	v_add_f32_e32 v28, v49, v28                                // 00000000636C: 02383931
	v_add_f32_e32 v4, v28, v4                                  // 000000006370: 0208091C
	v_cvt_pk_bf16_f32 v42, v42, v43                            // 000000006374: D268002A 0002572A
	v_cvt_pk_bf16_f32 v43, v44, v45                            // 00000000637C: D268002B 00025B2C
	v_cvt_pk_bf16_f32 v44, v46, v47                            // 000000006384: D268002C 00025F2E
	v_cvt_pk_bf16_f32 v45, v48, v49                            // 00000000638C: D268002D 00026330
	s_nop 0                                                    // 000000006394: BF800000
	v_permlane32_swap_b32_e32 v42, v44                         // 000000006398: 7E54B52C
	v_permlane32_swap_b32_e32 v43, v45                         // 00000000639C: 7E56B52D
	s_nop 0                                                    // 0000000063A0: BF800000
	v_permlane16_swap_b32_e32 v42, v44                         // 0000000063A4: 7E54B32C
	v_permlane16_swap_b32_e32 v43, v45                         // 0000000063A8: 7E56B32D
	s_waitcnt lgkmcnt(0)                                       // 0000000063AC: BF8CC07F
	v_mfma_f32_16x16x32_bf16 v[38:41], a[72:75], a[0:3], 0     // 0000000063B0: D3B50026 1A020148
	v_mul_f32_e32 v50, v16, v50                                // 0000000063B8: 0A646510
	v_mul_f32_e32 v51, v16, v51                                // 0000000063BC: 0A666710
	ds_read_b64_tr_b16 a[144:145], v14                         // 0000000063C0: DBC60000 9000000E
	ds_read_b64_tr_b16 a[146:147], v14 offset:256              // 0000000063C8: DBC60100 9200000E
	v_mfma_f32_16x16x32_bf16 v[38:41], a[76:79], a[4:7], v[38:41]// 0000000063D0: D3B50026 1C9A094C
	buffer_load_dwordx4 v32, s[20:23], 0 offen offset:320 lds  // 0000000063D8: E05D1140 80050020
	s_add_i32 m0, m0, 0x3c0                                    // 0000000063E0: 817CFF7C 000003C0
	v_mul_f32_e32 v52, v16, v52                                // 0000000063E8: 0A686910
	v_mul_f32_e32 v53, v16, v53                                // 0000000063EC: 0A6A6B10
	v_mfma_f32_16x16x32_bf16 v[38:41], a[80:83], a[8:11], v[38:41]// 0000000063F0: D3B50026 1C9A1150
	v_mul_f32_e32 v54, v16, v54                                // 0000000063F8: 0A6C6D10
	v_mul_f32_e32 v55, v16, v55                                // 0000000063FC: 0A6E6F10
	ds_read_b64_tr_b16 a[148:149], v15                         // 000000006400: DBC60000 9400000F
	ds_read_b64_tr_b16 a[150:151], v15 offset:256              // 000000006408: DBC60100 9600000F
	v_mfma_f32_16x16x32_bf16 v[38:41], a[84:87], a[12:15], v[38:41]// 000000006410: D3B50026 1C9A1954
	v_mul_f32_e32 v56, v16, v56                                // 000000006418: 0A707110
	v_mul_f32_e32 v57, v16, v57                                // 00000000641C: 0A727310
	ds_read_b64_tr_b16 a[152:153], v14 offset:1024             // 000000006420: DBC60400 9800000E
	ds_read_b64_tr_b16 a[154:155], v14 offset:1280             // 000000006428: DBC60500 9A00000E
	v_mfma_f32_16x16x32_bf16 v[38:41], a[88:91], a[16:19], v[38:41]// 000000006430: D3B50026 1C9A2158
	v_mul_f32_e32 v58, v16, v58                                // 000000006438: 0A747510
	v_mul_f32_e32 v59, v16, v59                                // 00000000643C: 0A767710
	ds_read_b64_tr_b16 a[156:157], v15 offset:1024             // 000000006440: DBC60400 9C00000F
	ds_read_b64_tr_b16 a[158:159], v15 offset:1280             // 000000006448: DBC60500 9E00000F
	v_mfma_f32_16x16x32_bf16 v[38:41], a[92:95], a[20:23], v[38:41]// 000000006450: D3B50026 1C9A295C
	v_mul_f32_e32 v60, v16, v60                                // 000000006458: 0A787910
	v_mul_f32_e32 v61, v16, v61                                // 00000000645C: 0A7A7B10
	ds_read_b64_tr_b16 a[160:161], v14 offset:2048             // 000000006460: DBC60800 A000000E
	ds_read_b64_tr_b16 a[162:163], v14 offset:2304             // 000000006468: DBC60900 A200000E
	v_mfma_f32_16x16x32_bf16 v[38:41], a[96:99], a[24:27], v[38:41]// 000000006470: D3B50026 1C9A3160
	v_mul_f32_e32 v62, v16, v62                                // 000000006478: 0A7C7D10
	v_mul_f32_e32 v63, v16, v63                                // 00000000647C: 0A7E7F10
	ds_read_b64_tr_b16 a[164:165], v15 offset:2048             // 000000006480: DBC60800 A400000F
	ds_read_b64_tr_b16 a[166:167], v15 offset:2304             // 000000006488: DBC60900 A600000F
	v_mfma_f32_16x16x32_bf16 v[38:41], a[100:103], a[28:31], v[38:41]// 000000006490: D3B50026 1C9A3964
	buffer_load_dwordx4 v32, s[20:23], 0 offen offset:384 lds  // 000000006498: E05D1180 80050020
	s_add_i32 m0, m0, 0x3c0                                    // 0000000064A0: 817CFF7C 000003C0
	v_mfma_f32_16x16x32_bf16 v[38:41], a[104:107], a[32:35], v[38:41]// 0000000064A8: D3B50026 1C9A4168
	v_mul_f32_e32 v64, v16, v64                                // 0000000064B0: 0A808110
	v_mul_f32_e32 v65, v16, v65                                // 0000000064B4: 0A828310
	ds_read_b64_tr_b16 a[168:169], v14 offset:3072             // 0000000064B8: DBC60C00 A800000E
	ds_read_b64_tr_b16 a[170:171], v14 offset:3328             // 0000000064C0: DBC60D00 AA00000E
	v_mfma_f32_16x16x32_bf16 v[38:41], a[108:111], a[36:39], v[38:41]// 0000000064C8: D3B50026 1C9A496C
	v_mul_f32_e32 v66, v16, v66                                // 0000000064D0: 0A848510
	v_mul_f32_e32 v67, v16, v67                                // 0000000064D4: 0A868710
	ds_read_b64_tr_b16 a[172:173], v15 offset:3072             // 0000000064D8: DBC60C00 AC00000F
	ds_read_b64_tr_b16 a[174:175], v15 offset:3328             // 0000000064E0: DBC60D00 AE00000F
	v_mfma_f32_16x16x32_bf16 v[38:41], a[112:115], a[40:43], v[38:41]// 0000000064E8: D3B50026 1C9A5170
	v_mul_f32_e32 v68, v16, v68                                // 0000000064F0: 0A888910
	v_mul_f32_e32 v69, v16, v69                                // 0000000064F4: 0A8A8B10
	ds_read_b64_tr_b16 a[176:177], v14 offset:4096             // 0000000064F8: DBC61000 B000000E
	ds_read_b64_tr_b16 a[178:179], v14 offset:4352             // 000000006500: DBC61100 B200000E
	v_mfma_f32_16x16x32_bf16 v[38:41], a[116:119], a[44:47], v[38:41]// 000000006508: D3B50026 1C9A5974
	buffer_load_dwordx4 v32, s[20:23], 0 offen offset:448 lds  // 000000006510: E05D11C0 80050020
	s_add_i32 m0, m0, 0x3c0                                    // 000000006518: 817CFF7C 000003C0
	v_mul_f32_e32 v70, v16, v70                                // 000000006520: 0A8C8D10
	v_mul_f32_e32 v71, v16, v71                                // 000000006524: 0A8E8F10
	v_mfma_f32_16x16x32_bf16 v[38:41], a[120:123], a[48:51], v[38:41]// 000000006528: D3B50026 1C9A6178
	v_mul_f32_e32 v72, v16, v72                                // 000000006530: 0A909110
	v_mul_f32_e32 v73, v16, v73                                // 000000006534: 0A929310
	ds_read_b64_tr_b16 a[180:181], v15 offset:4096             // 000000006538: DBC61000 B400000F
	ds_read_b64_tr_b16 a[182:183], v15 offset:4352             // 000000006540: DBC61100 B600000F
	v_mfma_f32_16x16x32_bf16 v[38:41], a[124:127], a[52:55], v[38:41]// 000000006548: D3B50026 1C9A697C
	v_mul_f32_e32 v74, v16, v74                                // 000000006550: 0A949510
	v_mul_f32_e32 v75, v16, v75                                // 000000006554: 0A969710
	ds_read_b64_tr_b16 a[184:185], v14 offset:5120             // 000000006558: DBC61400 B800000E
	ds_read_b64_tr_b16 a[186:187], v14 offset:5376             // 000000006560: DBC61500 BA00000E
	v_mfma_f32_16x16x32_bf16 v[38:41], a[128:131], a[56:59], v[38:41]// 000000006568: D3B50026 1C9A7180
	v_mul_f32_e32 v76, v16, v76                                // 000000006570: 0A989910
	v_mul_f32_e32 v77, v16, v77                                // 000000006574: 0A9A9B10
	ds_read_b64_tr_b16 a[188:189], v15 offset:5120             // 000000006578: DBC61400 BC00000F
	ds_read_b64_tr_b16 a[190:191], v15 offset:5376             // 000000006580: DBC61500 BE00000F
	v_mfma_f32_16x16x32_bf16 v[38:41], a[132:135], a[60:63], v[38:41]// 000000006588: D3B50026 1C9A7984
	buffer_load_dwordx4 v32, s[20:23], 0 offen offset:512 lds  // 000000006590: E05D1200 80050020
	s_add_i32 m0, m0, 0x3c0                                    // 000000006598: 817CFF7C 000003C0
	v_mfma_f32_16x16x32_bf16 v[38:41], a[136:139], a[64:67], v[38:41]// 0000000065A0: D3B50026 1C9A8188
	v_mul_f32_e32 v78, v16, v78                                // 0000000065A8: 0A9C9D10
	v_mul_f32_e32 v79, v16, v79                                // 0000000065AC: 0A9E9F10
	ds_read_b64_tr_b16 a[192:193], v14 offset:6144             // 0000000065B0: DBC61800 C000000E
	ds_read_b64_tr_b16 a[194:195], v14 offset:6400             // 0000000065B8: DBC61900 C200000E
	ds_read_b64_tr_b16 a[196:197], v15 offset:6144             // 0000000065C0: DBC61800 C400000F
	ds_read_b64_tr_b16 a[198:199], v15 offset:6400             // 0000000065C8: DBC61900 C600000F
	ds_read_b64_tr_b16 a[200:201], v14 offset:7168             // 0000000065D0: DBC61C00 C800000E
	ds_read_b64_tr_b16 a[202:203], v14 offset:7424             // 0000000065D8: DBC61D00 CA00000E
	ds_read_b64_tr_b16 a[204:205], v15 offset:7168             // 0000000065E0: DBC61C00 CC00000F
	ds_read_b64_tr_b16 a[206:207], v15 offset:7424             // 0000000065E8: DBC61D00 CE00000F
	v_mov_b32_e32 v30, v16                                     // 0000000065F0: 7E3C0310
	v_mov_b32_e32 v31, v16                                     // 0000000065F4: 7E3E0310
	v_pk_mul_f32 v[80:81], v[30:31], v[80:81]                  // 0000000065F8: D3B14050 1802A11E
	v_pk_mul_f32 v[82:83], v[30:31], v[82:83]                  // 000000006600: D3B14052 1802A51E
	v_pk_mul_f32 v[84:85], v[30:31], v[84:85]                  // 000000006608: D3B14054 1802A91E
	v_pk_mul_f32 v[86:87], v[30:31], v[86:87]                  // 000000006610: D3B14056 1802AD1E
	v_pk_mul_f32 v[88:89], v[30:31], v[88:89]                  // 000000006618: D3B14058 1802B11E
	v_pk_mul_f32 v[90:91], v[30:31], v[90:91]                  // 000000006620: D3B1405A 1802B51E
	v_pk_mul_f32 v[92:93], v[30:31], v[92:93]                  // 000000006628: D3B1405C 1802B91E
	v_pk_mul_f32 v[94:95], v[30:31], v[94:95]                  // 000000006630: D3B1405E 1802BD1E
	v_pk_mul_f32 v[96:97], v[30:31], v[96:97]                  // 000000006638: D3B14060 1802C11E
	v_pk_mul_f32 v[98:99], v[30:31], v[98:99]                  // 000000006640: D3B14062 1802C51E
	v_pk_mul_f32 v[100:101], v[30:31], v[100:101]              // 000000006648: D3B14064 1802C91E
	v_pk_mul_f32 v[102:103], v[30:31], v[102:103]              // 000000006650: D3B14066 1802CD1E
	v_pk_mul_f32 v[104:105], v[30:31], v[104:105]              // 000000006658: D3B14068 1802D11E
	v_pk_mul_f32 v[106:107], v[30:31], v[106:107]              // 000000006660: D3B1406A 1802D51E
	v_pk_mul_f32 v[108:109], v[30:31], v[108:109]              // 000000006668: D3B1406C 1802D91E
	v_pk_mul_f32 v[110:111], v[30:31], v[110:111]              // 000000006670: D3B1406E 1802DD1E
	v_pk_mul_f32 v[112:113], v[30:31], v[112:113]              // 000000006678: D3B14070 1802E11E
	v_pk_mul_f32 v[114:115], v[30:31], v[114:115]              // 000000006680: D3B14072 1802E51E
	v_pk_mul_f32 v[116:117], v[30:31], v[116:117]              // 000000006688: D3B14074 1802E91E
	v_pk_mul_f32 v[118:119], v[30:31], v[118:119]              // 000000006690: D3B14076 1802ED1E
	v_pk_mul_f32 v[120:121], v[30:31], v[120:121]              // 000000006698: D3B14078 1802F11E
	v_pk_mul_f32 v[122:123], v[30:31], v[122:123]              // 0000000066A0: D3B1407A 1802F51E
	v_pk_mul_f32 v[124:125], v[30:31], v[124:125]              // 0000000066A8: D3B1407C 1802F91E
	v_pk_mul_f32 v[126:127], v[30:31], v[126:127]              // 0000000066B0: D3B1407E 1802FD1E
	v_pk_mul_f32 v[128:129], v[30:31], v[128:129]              // 0000000066B8: D3B14080 1803011E
	v_pk_mul_f32 v[130:131], v[30:31], v[130:131]              // 0000000066C0: D3B14082 1803051E
	v_pk_mul_f32 v[132:133], v[30:31], v[132:133]              // 0000000066C8: D3B14084 1803091E
	v_pk_mul_f32 v[134:135], v[30:31], v[134:135]              // 0000000066D0: D3B14086 18030D1E
	v_pk_mul_f32 v[136:137], v[30:31], v[136:137]              // 0000000066D8: D3B14088 1803111E
	v_pk_mul_f32 v[138:139], v[30:31], v[138:139]              // 0000000066E0: D3B1408A 1803151E
	v_pk_mul_f32 v[140:141], v[30:31], v[140:141]              // 0000000066E8: D3B1408C 1803191E
	v_pk_mul_f32 v[142:143], v[30:31], v[142:143]              // 0000000066F0: D3B1408E 18031D1E
	v_pk_mul_f32 v[144:145], v[30:31], v[144:145]              // 0000000066F8: D3B14090 1803211E
	v_pk_mul_f32 v[146:147], v[30:31], v[146:147]              // 000000006700: D3B14092 1803251E
	v_pk_mul_f32 v[148:149], v[30:31], v[148:149]              // 000000006708: D3B14094 1803291E
	v_pk_mul_f32 v[150:151], v[30:31], v[150:151]              // 000000006710: D3B14096 18032D1E
	v_pk_mul_f32 v[152:153], v[30:31], v[152:153]              // 000000006718: D3B14098 1803311E
	v_pk_mul_f32 v[154:155], v[30:31], v[154:155]              // 000000006720: D3B1409A 1803351E
	v_pk_mul_f32 v[156:157], v[30:31], v[156:157]              // 000000006728: D3B1409C 1803391E
	v_pk_mul_f32 v[158:159], v[30:31], v[158:159]              // 000000006730: D3B1409E 18033D1E
	v_pk_mul_f32 v[160:161], v[30:31], v[160:161]              // 000000006738: D3B140A0 1803411E
	v_pk_mul_f32 v[162:163], v[30:31], v[162:163]              // 000000006740: D3B140A2 1803451E
	v_pk_mul_f32 v[164:165], v[30:31], v[164:165]              // 000000006748: D3B140A4 1803491E
	v_pk_mul_f32 v[166:167], v[30:31], v[166:167]              // 000000006750: D3B140A6 18034D1E
	v_pk_mul_f32 v[168:169], v[30:31], v[168:169]              // 000000006758: D3B140A8 1803511E
	v_pk_mul_f32 v[170:171], v[30:31], v[170:171]              // 000000006760: D3B140AA 1803551E
	v_pk_mul_f32 v[172:173], v[30:31], v[172:173]              // 000000006768: D3B140AC 1803591E
	v_pk_mul_f32 v[174:175], v[30:31], v[174:175]              // 000000006770: D3B140AE 18035D1E
	v_pk_mul_f32 v[176:177], v[30:31], v[176:177]              // 000000006778: D3B140B0 1803611E
	v_mfma_f32_16x16x32_bf16 v[38:41], a[140:143], a[68:71], v[38:41]// 000000006780: D3B50026 1C9A898C
	s_addk_i32 s70, 0x1                                        // 000000006788: B7460001
	s_cmp_lt_i32 s70, s71                                      // 00000000678C: BF044746
	s_cbranch_scc0 label_3B18                                  // 000000006790: BF84FDA1
	s_waitcnt lgkmcnt(0)                                       // 000000006794: BF8CC07F
	v_mul_u32_u24_e64 v32, v23, s68                            // 000000006798: D1080020 00008917
	v_add_u32_e32 v32, v32, v1                                 // 0000000067A0: 68400320
	v_mfma_f32_16x16x32_bf16 v[50:53], a[144:147], v[42:45], v[50:53]// 0000000067A4: D3B50032 0CCA5590
	v_mov_b32_e32 v29, v34                                     // 0000000067AC: 7E3A0322
	v_max3_f32 v29, v34, v35, v29                              // 0000000067B0: D1D3001D 04764722
	v_mfma_f32_16x16x32_bf16 v[54:57], a[148:151], v[42:45], v[54:57]// 0000000067B8: D3B50036 0CDA5594
	ds_read_b64_tr_b16 a[144:145], v14 offset:8192             // 0000000067C0: DBC62000 9000000E
	ds_read_b64_tr_b16 a[146:147], v14 offset:8448             // 0000000067C8: DBC62100 9200000E
	v_mfma_f32_16x16x32_bf16 v[58:61], a[152:155], v[42:45], v[58:61]// 0000000067D0: D3B5003A 0CEA5598
	v_max3_f32 v29, v36, v37, v29                              // 0000000067D8: D1D3001D 04764B24
	v_max3_f32 v29, v38, v39, v29                              // 0000000067E0: D1D3001D 04764F26
	v_mfma_f32_16x16x32_bf16 v[62:65], a[156:159], v[42:45], v[62:65]// 0000000067E8: D3B5003E 0CFA559C
	ds_read_b64_tr_b16 a[148:149], v15 offset:8192             // 0000000067F0: DBC62000 9400000F
	ds_read_b64_tr_b16 a[150:151], v15 offset:8448             // 0000000067F8: DBC62100 9600000F
	v_mfma_f32_16x16x32_bf16 v[66:69], a[160:163], v[42:45], v[66:69]// 000000006800: D3B50042 0D0A55A0
	v_max3_f32 v29, v40, v41, v29                              // 000000006808: D1D3001D 04765328
	v_mov_b32_e32 v28, v29                                     // 000000006810: 7E38031D
	v_mfma_f32_16x16x32_bf16 v[70:73], a[164:167], v[42:45], v[70:73]// 000000006814: D3B50046 0D1A55A4
	ds_read_b64_tr_b16 a[152:153], v14 offset:9216             // 00000000681C: DBC62400 9800000E
	ds_read_b64_tr_b16 a[154:155], v14 offset:9472             // 000000006824: DBC62500 9A00000E
	v_mfma_f32_16x16x32_bf16 v[74:77], a[168:171], v[42:45], v[74:77]// 00000000682C: D3B5004A 0D2A55A8
	v_mov_b32_e32 v29, v29                                     // 000000006834: 7E3A031D
	s_nop 1                                                    // 000000006838: BF800001
	v_mfma_f32_16x16x32_bf16 v[78:81], a[172:175], v[42:45], v[78:81]// 00000000683C: D3B5004E 0D3A55AC
	ds_read_b64_tr_b16 a[156:157], v15 offset:9216             // 000000006844: DBC62400 9C00000F
	ds_read_b64_tr_b16 a[158:159], v15 offset:9472             // 00000000684C: DBC62500 9E00000F
	v_mfma_f32_16x16x32_bf16 v[82:85], a[176:179], v[42:45], v[82:85]// 000000006854: D3B50052 0D4A55B0
	v_permlane16_swap_b32_e32 v28, v29                         // 00000000685C: 7E38B31D
	v_mfma_f32_16x16x32_bf16 v[86:89], a[180:183], v[42:45], v[86:89]// 000000006860: D3B50056 0D5A55B4
	ds_read_b64_tr_b16 a[160:161], v14 offset:10240            // 000000006868: DBC62800 A000000E
	ds_read_b64_tr_b16 a[162:163], v14 offset:10496            // 000000006870: DBC62900 A200000E
	v_mfma_f32_16x16x32_bf16 v[90:93], a[184:187], v[42:45], v[90:93]// 000000006878: D3B5005A 0D6A55B8
	v_mov_b32_e32 v31, v28                                     // 000000006880: 7E3E031C
	v_mov_b32_e32 v30, v29                                     // 000000006884: 7E3C031D
	v_mfma_f32_16x16x32_bf16 v[94:97], a[188:191], v[42:45], v[94:97]// 000000006888: D3B5005E 0D7A55BC
	ds_read_b64_tr_b16 a[164:165], v15 offset:10240            // 000000006890: DBC62800 A400000F
	ds_read_b64_tr_b16 a[166:167], v15 offset:10496            // 000000006898: DBC62900 A600000F
	v_mfma_f32_16x16x32_bf16 v[98:101], a[192:195], v[42:45], v[98:101]// 0000000068A0: D3B50062 0D8A55C0
	s_nop 1                                                    // 0000000068A8: BF800001
	v_permlane32_swap_b32_e32 v28, v29                         // 0000000068AC: 7E38B51D
	v_mfma_f32_16x16x32_bf16 v[102:105], a[196:199], v[42:45], v[102:105]// 0000000068B0: D3B50066 0D9A55C4
	ds_read_b64_tr_b16 a[168:169], v14 offset:11264            // 0000000068B8: DBC62C00 A800000E
	ds_read_b64_tr_b16 a[170:171], v14 offset:11520            // 0000000068C0: DBC62D00 AA00000E
	v_mfma_f32_16x16x32_bf16 v[106:109], a[200:203], v[42:45], v[106:109]// 0000000068C8: D3B5006A 0DAA55C8
	v_permlane32_swap_b32_e32 v30, v31                         // 0000000068D0: 7E3CB51F
	v_mfma_f32_16x16x32_bf16 v[110:113], a[204:207], v[42:45], v[110:113]// 0000000068D4: D3B5006E 0DBA55CC
	ds_read_b64_tr_b16 a[172:173], v15 offset:11264            // 0000000068DC: DBC62C00 AC00000F
	ds_read_b64_tr_b16 a[174:175], v15 offset:11520            // 0000000068E4: DBC62D00 AE00000F
	ds_read_b64_tr_b16 a[176:177], v14 offset:12288            // 0000000068EC: DBC63000 B000000E
	ds_read_b64_tr_b16 a[178:179], v14 offset:12544            // 0000000068F4: DBC63100 B200000E
	ds_read_b64_tr_b16 a[180:181], v15 offset:12288            // 0000000068FC: DBC63000 B400000F
	ds_read_b64_tr_b16 a[182:183], v15 offset:12544            // 000000006904: DBC63100 B600000F
	ds_read_b64_tr_b16 a[184:185], v14 offset:13312            // 00000000690C: DBC63400 B800000E
	ds_read_b64_tr_b16 a[186:187], v14 offset:13568            // 000000006914: DBC63500 BA00000E
	ds_read_b64_tr_b16 a[188:189], v15 offset:13312            // 00000000691C: DBC63400 BC00000F
	ds_read_b64_tr_b16 a[190:191], v15 offset:13568            // 000000006924: DBC63500 BE00000F
	s_waitcnt lgkmcnt(0)                                       // 00000000692C: BF8CC07F
	v_mfma_f32_16x16x32_bf16 v[114:117], a[144:147], v[42:45], v[114:117]// 000000006930: D3B50072 0DCA5590
	ds_read_b64_tr_b16 a[192:193], v14 offset:14336            // 000000006938: DBC63800 C000000E
	ds_read_b64_tr_b16 a[194:195], v14 offset:14592            // 000000006940: DBC63900 C200000E
	v_mfma_f32_16x16x32_bf16 v[118:121], a[148:151], v[42:45], v[118:121]// 000000006948: D3B50076 0DDA5594
	s_waitcnt vmcnt(10)                                        // 000000006950: BF8C0F7A
	s_barrier                                                  // 000000006954: BF8A0000
	ds_read_b128 a[72:75], v19                                 // 000000006958: DBFE0000 48000013
	ds_read_b128 a[76:79], v19 offset:1024                     // 000000006960: DBFE0400 4C000013
	v_mfma_f32_16x16x32_bf16 v[122:125], a[152:155], v[42:45], v[122:125]// 000000006968: D3B5007A 0DEA5598
	ds_read_b64_tr_b16 a[196:197], v15 offset:14336            // 000000006970: DBC63800 C400000F
	ds_read_b64_tr_b16 a[198:199], v15 offset:14592            // 000000006978: DBC63900 C600000F
	v_mfma_f32_16x16x32_bf16 v[126:129], a[156:159], v[42:45], v[126:129]// 000000006980: D3B5007E 0DFA559C
	ds_read_b128 a[80:83], v19 offset:2048                     // 000000006988: DBFE0800 50000013
	ds_read_b128 a[84:87], v19 offset:3072                     // 000000006990: DBFE0C00 54000013
	v_mfma_f32_16x16x32_bf16 v[130:133], a[160:163], v[42:45], v[130:133]// 000000006998: D3B50082 0E0A55A0
	ds_read_b64_tr_b16 a[200:201], v14 offset:15360            // 0000000069A0: DBC63C00 C800000E
	ds_read_b64_tr_b16 a[202:203], v14 offset:15616            // 0000000069A8: DBC63D00 CA00000E
	v_mfma_f32_16x16x32_bf16 v[134:137], a[164:167], v[42:45], v[134:137]// 0000000069B0: D3B50086 0E1A55A4
	ds_read_b128 a[88:91], v19 offset:4096                     // 0000000069B8: DBFE1000 58000013
	ds_read_b128 a[92:95], v19 offset:5120                     // 0000000069C0: DBFE1400 5C000013
	v_mfma_f32_16x16x32_bf16 v[138:141], a[168:171], v[42:45], v[138:141]// 0000000069C8: D3B5008A 0E2A55A8
	ds_read_b64_tr_b16 a[204:205], v15 offset:15360            // 0000000069D0: DBC63C00 CC00000F
	ds_read_b64_tr_b16 a[206:207], v15 offset:15616            // 0000000069D8: DBC63D00 CE00000F
	v_mfma_f32_16x16x32_bf16 v[142:145], a[172:175], v[42:45], v[142:145]// 0000000069E0: D3B5008E 0E3A55AC
	ds_read_b128 a[96:99], v19 offset:6144                     // 0000000069E8: DBFE1800 60000013
	ds_read_b128 a[100:103], v19 offset:7168                   // 0000000069F0: DBFE1C00 64000013
	v_mfma_f32_16x16x32_bf16 v[146:149], a[176:179], v[42:45], v[146:149]// 0000000069F8: D3B50092 0E4A55B0
	v_max3_f32 v29, v28, v29, v29                              // 000000006A00: D1D3001D 04763B1C
	v_max3_f32 v29, v30, v31, v29                              // 000000006A08: D1D3001D 04763F1E
	v_mfma_f32_16x16x32_bf16 v[150:153], a[180:183], v[42:45], v[150:153]// 000000006A10: D3B50096 0E5A55B4
	ds_read_b128 a[104:107], v19 offset:8192                   // 000000006A18: DBFE2000 68000013
	ds_read_b128 a[108:111], v19 offset:9216                   // 000000006A20: DBFE2400 6C000013
	v_mfma_f32_16x16x32_bf16 v[154:157], a[184:187], v[42:45], v[154:157]// 000000006A28: D3B5009A 0E6A55B8
	v_mov_b32_e32 v28, 0xff800000                              // 000000006A30: 7E3802FF FF800000
	v_cmp_eq_u32_e64 s[36:37], v28, v2                         // 000000006A38: D0CA0024 0002051C
	v_mfma_f32_16x16x32_bf16 v[158:161], a[188:191], v[42:45], v[158:161]// 000000006A40: D3B5009E 0E7A55BC
	ds_read_b128 a[112:115], v19 offset:10240                  // 000000006A48: DBFE2800 70000013
	ds_read_b128 a[116:119], v19 offset:11264                  // 000000006A50: DBFE2C00 74000013
	v_mfma_f32_16x16x32_bf16 v[162:165], a[192:195], v[42:45], v[162:165]// 000000006A58: D3B500A2 0E8A55C0
	v_max_f32_e32 v29, v29, v2                                 // 000000006A60: 163A051D
	v_sub_f32_e32 v16, v2, v29                                 // 000000006A64: 04203B02
	v_mfma_f32_16x16x32_bf16 v[166:169], a[196:199], v[42:45], v[166:169]// 000000006A68: D3B500A6 0E9A55C4
	ds_read_b128 a[120:123], v19 offset:12288                  // 000000006A70: DBFE3000 78000013
	ds_read_b128 a[124:127], v19 offset:13312                  // 000000006A78: DBFE3400 7C000013
	v_mfma_f32_16x16x32_bf16 v[170:173], a[200:203], v[42:45], v[170:173]// 000000006A80: D3B500AA 0EAA55C8
	v_cndmask_b32_e64 v16, v16, 0, s[36:37]                    // 000000006A88: D1000010 00910110
	v_mov_b32_e32 v2, v29                                      // 000000006A90: 7E04031D
	v_mfma_f32_16x16x32_bf16 v[174:177], a[204:207], v[42:45], v[174:177]// 000000006A94: D3B500AE 0EBA55CC
	ds_read_b128 a[128:131], v19 offset:14336                  // 000000006A9C: DBFE3800 80000013
	ds_read_b128 a[132:135], v19 offset:15360                  // 000000006AA4: DBFE3C00 84000013
	ds_read_b128 a[136:139], v19 offset:16384                  // 000000006AAC: DBFE4000 88000013
	ds_read_b128 a[140:143], v19 offset:17408                  // 000000006AB4: DBFE4400 8C000013
	s_waitcnt lgkmcnt(0)                                       // 000000006ABC: BF8CC07F
	v_mfma_f32_16x16x32_bf16 v[42:45], a[72:75], a[0:3], 0     // 000000006AC0: D3B5002A 1A020148
	buffer_load_dword v25, v26, s[24:27], 0 offen              // 000000006AC8: E0501000 8006191A
	v_mul_f32_e32 v29, s5, v29                                 // 000000006AD0: 0A3A3A05
	s_mov_b32 s56, 0x1d000                                     // 000000006AD4: BEB800FF 0001D000
	s_mul_i32 s57, s7, 0x2400                                  // 000000006ADC: 9239FF07 00002400
	s_add_u32 m0, s56, s57                                     // 000000006AE4: 807C3938
	buffer_load_dwordx4 v32, s[20:23], 0 offen lds             // 000000006AE8: E05D1000 80050020
	s_add_i32 m0, m0, 0x3c0                                    // 000000006AF0: 817CFF7C 000003C0
	v_mfma_f32_16x16x32_bf16 v[42:45], a[76:79], a[4:7], v[42:45]// 000000006AF8: D3B5002A 1CAA094C
	buffer_load_dwordx4 v32, s[20:23], 0 offen offset:64 lds   // 000000006B00: E05D1040 80050020
	s_add_i32 m0, m0, 0x3c0                                    // 000000006B08: 817CFF7C 000003C0
	v_mfma_f32_16x16x32_bf16 v[42:45], a[80:83], a[8:11], v[42:45]// 000000006B10: D3B5002A 1CAA1150
	v_mul_f32_e32 v16, s5, v16                                 // 000000006B18: 0A202005
	v_exp_f32_e32 v16, v16                                     // 000000006B1C: 7E204110
	v_mfma_f32_16x16x32_bf16 v[42:45], a[84:87], a[12:15], v[42:45]// 000000006B20: D3B5002A 1CAA1954
	v_add_u32_e32 v26, s73, v26                                // 000000006B28: 68343449
	ds_read_b128 a[72:75], v19 offset:18432                    // 000000006B2C: DBFE4800 48000013
	ds_read_b128 a[76:79], v19 offset:19456                    // 000000006B34: DBFE4C00 4C000013
	v_fma_f32 v34, v34, s5, -v29                               // 000000006B3C: D1CB0022 84740B22
	v_mfma_f32_16x16x32_bf16 v[42:45], a[88:91], a[16:19], v[42:45]// 000000006B44: D3B5002A 1CAA2158
	ds_read_b128 a[80:83], v19 offset:20480                    // 000000006B4C: DBFE5000 50000013
	ds_read_b128 a[84:87], v19 offset:21504                    // 000000006B54: DBFE5400 54000013
	v_fma_f32 v35, v35, s5, -v29                               // 000000006B5C: D1CB0023 84740B23
	v_mfma_f32_16x16x32_bf16 v[42:45], a[92:95], a[20:23], v[42:45]// 000000006B64: D3B5002A 1CAA295C
	buffer_load_dwordx4 v32, s[20:23], 0 offen offset:128 lds  // 000000006B6C: E05D1080 80050020
	s_add_i32 m0, m0, 0x3c0                                    // 000000006B74: 817CFF7C 000003C0
	v_mfma_f32_16x16x32_bf16 v[42:45], a[96:99], a[24:27], v[42:45]// 000000006B7C: D3B5002A 1CAA3160
	v_fma_f32 v36, v36, s5, -v29                               // 000000006B84: D1CB0024 84740B24
	v_fma_f32 v37, v37, s5, -v29                               // 000000006B8C: D1CB0025 84740B25
	v_mfma_f32_16x16x32_bf16 v[42:45], a[100:103], a[28:31], v[42:45]// 000000006B94: D3B5002A 1CAA3964
	ds_read_b128 a[88:91], v19 offset:22528                    // 000000006B9C: DBFE5800 58000013
	ds_read_b128 a[92:95], v19 offset:23552                    // 000000006BA4: DBFE5C00 5C000013
	v_fma_f32 v38, v38, s5, -v29                               // 000000006BAC: D1CB0026 84740B26
	v_mfma_f32_16x16x32_bf16 v[42:45], a[104:107], a[32:35], v[42:45]// 000000006BB4: D3B5002A 1CAA4168
	ds_read_b128 a[96:99], v19 offset:24576                    // 000000006BBC: DBFE6000 60000013
	ds_read_b128 a[100:103], v19 offset:25600                  // 000000006BC4: DBFE6400 64000013
	v_fma_f32 v39, v39, s5, -v29                               // 000000006BCC: D1CB0027 84740B27
	v_mfma_f32_16x16x32_bf16 v[42:45], a[108:111], a[36:39], v[42:45]// 000000006BD4: D3B5002A 1CAA496C
	buffer_load_dwordx4 v32, s[20:23], 0 offen offset:192 lds  // 000000006BDC: E05D10C0 80050020
	s_add_i32 m0, m0, 0x3c0                                    // 000000006BE4: 817CFF7C 000003C0
	v_mfma_f32_16x16x32_bf16 v[42:45], a[112:115], a[40:43], v[42:45]// 000000006BEC: D3B5002A 1CAA5170
	v_fma_f32 v40, v40, s5, -v29                               // 000000006BF4: D1CB0028 84740B28
	v_fma_f32 v41, v41, s5, -v29                               // 000000006BFC: D1CB0029 84740B29
	v_mfma_f32_16x16x32_bf16 v[42:45], a[116:119], a[44:47], v[42:45]// 000000006C04: D3B5002A 1CAA5974
	v_exp_f32_e32 v34, v34                                     // 000000006C0C: 7E444122
	v_mfma_f32_16x16x32_bf16 v[42:45], a[120:123], a[48:51], v[42:45]// 000000006C10: D3B5002A 1CAA6178
	ds_read_b128 a[104:107], v19 offset:26624                  // 000000006C18: DBFE6800 68000013
	ds_read_b128 a[108:111], v19 offset:27648                  // 000000006C20: DBFE6C00 6C000013
	v_exp_f32_e32 v35, v35                                     // 000000006C28: 7E464123
	v_mfma_f32_16x16x32_bf16 v[42:45], a[124:127], a[52:55], v[42:45]// 000000006C2C: D3B5002A 1CAA697C
	buffer_load_dwordx4 v32, s[20:23], 0 offen offset:256 lds  // 000000006C34: E05D1100 80050020
	s_add_i32 m0, m0, 0x3c0                                    // 000000006C3C: 817CFF7C 000003C0
	v_mfma_f32_16x16x32_bf16 v[42:45], a[128:131], a[56:59], v[42:45]// 000000006C44: D3B5002A 1CAA7180
	v_exp_f32_e32 v36, v36                                     // 000000006C4C: 7E484124
	v_mfma_f32_16x16x32_bf16 v[42:45], a[132:135], a[60:63], v[42:45]// 000000006C50: D3B5002A 1CAA7984
	ds_read_b128 a[112:115], v19 offset:28672                  // 000000006C58: DBFE7000 70000013
	ds_read_b128 a[116:119], v19 offset:29696                  // 000000006C60: DBFE7400 74000013
	v_exp_f32_e32 v37, v37                                     // 000000006C68: 7E4A4125
	v_mfma_f32_16x16x32_bf16 v[42:45], a[136:139], a[64:67], v[42:45]// 000000006C6C: D3B5002A 1CAA8188
	ds_read_b128 a[120:123], v19 offset:30720                  // 000000006C74: DBFE7800 78000013
	ds_read_b128 a[124:127], v19 offset:31744                  // 000000006C7C: DBFE7C00 7C000013
	v_exp_f32_e32 v38, v38                                     // 000000006C84: 7E4C4126
	v_mfma_f32_16x16x32_bf16 v[42:45], a[140:143], a[68:71], v[42:45]// 000000006C88: D3B5002A 1CAA898C
	ds_read_b128 a[128:131], v19 offset:32768                  // 000000006C90: DBFE8000 80000013
	ds_read_b128 a[132:135], v19 offset:33792                  // 000000006C98: DBFE8400 84000013
	v_exp_f32_e32 v39, v39                                     // 000000006CA0: 7E4E4127
	ds_read_b128 a[136:139], v19 offset:34816                  // 000000006CA4: DBFE8800 88000013
	ds_read_b128 a[140:143], v19 offset:35840                  // 000000006CAC: DBFE8C00 8C000013
	v_exp_f32_e32 v40, v40                                     // 000000006CB4: 7E504128
	v_exp_f32_e32 v41, v41                                     // 000000006CB8: 7E524129
	v_mul_f32_e32 v4, v16, v4                                  // 000000006CBC: 0A080910
	v_mov_b32_e32 v28, v34                                     // 000000006CC0: 7E380322
	v_add_f32_e32 v28, v35, v28                                // 000000006CC4: 02383923
	v_add_f32_e32 v28, v36, v28                                // 000000006CC8: 02383924
	v_add_f32_e32 v28, v37, v28                                // 000000006CCC: 02383925
	v_add_f32_e32 v28, v38, v28                                // 000000006CD0: 02383926
	v_add_f32_e32 v28, v39, v28                                // 000000006CD4: 02383927
	v_add_f32_e32 v28, v40, v28                                // 000000006CD8: 02383928
	v_add_f32_e32 v28, v41, v28                                // 000000006CDC: 02383929
	v_add_f32_e32 v4, v28, v4                                  // 000000006CE0: 0208091C
	v_cvt_pk_bf16_f32 v34, v34, v35                            // 000000006CE4: D2680022 00024722
	v_cvt_pk_bf16_f32 v35, v36, v37                            // 000000006CEC: D2680023 00024B24
	v_cvt_pk_bf16_f32 v36, v38, v39                            // 000000006CF4: D2680024 00024F26
	v_cvt_pk_bf16_f32 v37, v40, v41                            // 000000006CFC: D2680025 00025328
	s_nop 0                                                    // 000000006D04: BF800000
	v_permlane32_swap_b32_e32 v34, v36                         // 000000006D08: 7E44B524
	v_permlane32_swap_b32_e32 v35, v37                         // 000000006D0C: 7E46B525
	s_nop 0                                                    // 000000006D10: BF800000
	v_permlane16_swap_b32_e32 v34, v36                         // 000000006D14: 7E44B324
	v_permlane16_swap_b32_e32 v35, v37                         // 000000006D18: 7E46B325
	s_waitcnt lgkmcnt(0)                                       // 000000006D1C: BF8CC07F
	v_mfma_f32_16x16x32_bf16 v[46:49], a[72:75], a[0:3], 0     // 000000006D20: D3B5002E 1A020148
	v_mul_f32_e32 v50, v16, v50                                // 000000006D28: 0A646510
	v_mul_f32_e32 v51, v16, v51                                // 000000006D2C: 0A666710
	ds_read_b64_tr_b16 a[144:145], v8                          // 000000006D30: DBC60000 90000008
	ds_read_b64_tr_b16 a[146:147], v8 offset:256               // 000000006D38: DBC60100 92000008
	v_mfma_f32_16x16x32_bf16 v[46:49], a[76:79], a[4:7], v[46:49]// 000000006D40: D3B5002E 1CBA094C
	buffer_load_dwordx4 v32, s[20:23], 0 offen offset:320 lds  // 000000006D48: E05D1140 80050020
	s_add_i32 m0, m0, 0x3c0                                    // 000000006D50: 817CFF7C 000003C0
	v_mul_f32_e32 v52, v16, v52                                // 000000006D58: 0A686910
	v_mul_f32_e32 v53, v16, v53                                // 000000006D5C: 0A6A6B10
	v_mfma_f32_16x16x32_bf16 v[46:49], a[80:83], a[8:11], v[46:49]// 000000006D60: D3B5002E 1CBA1150
	v_mul_f32_e32 v54, v16, v54                                // 000000006D68: 0A6C6D10
	v_mul_f32_e32 v55, v16, v55                                // 000000006D6C: 0A6E6F10
	ds_read_b64_tr_b16 a[148:149], v9                          // 000000006D70: DBC60000 94000009
	ds_read_b64_tr_b16 a[150:151], v9 offset:256               // 000000006D78: DBC60100 96000009
	v_mfma_f32_16x16x32_bf16 v[46:49], a[84:87], a[12:15], v[46:49]// 000000006D80: D3B5002E 1CBA1954
	v_mul_f32_e32 v56, v16, v56                                // 000000006D88: 0A707110
	v_mul_f32_e32 v57, v16, v57                                // 000000006D8C: 0A727310
	ds_read_b64_tr_b16 a[152:153], v8 offset:1024              // 000000006D90: DBC60400 98000008
	ds_read_b64_tr_b16 a[154:155], v8 offset:1280              // 000000006D98: DBC60500 9A000008
	v_mfma_f32_16x16x32_bf16 v[46:49], a[88:91], a[16:19], v[46:49]// 000000006DA0: D3B5002E 1CBA2158
	v_mul_f32_e32 v58, v16, v58                                // 000000006DA8: 0A747510
	v_mul_f32_e32 v59, v16, v59                                // 000000006DAC: 0A767710
	ds_read_b64_tr_b16 a[156:157], v9 offset:1024              // 000000006DB0: DBC60400 9C000009
	ds_read_b64_tr_b16 a[158:159], v9 offset:1280              // 000000006DB8: DBC60500 9E000009
	v_mfma_f32_16x16x32_bf16 v[46:49], a[92:95], a[20:23], v[46:49]// 000000006DC0: D3B5002E 1CBA295C
	v_mul_f32_e32 v60, v16, v60                                // 000000006DC8: 0A787910
	v_mul_f32_e32 v61, v16, v61                                // 000000006DCC: 0A7A7B10
	ds_read_b64_tr_b16 a[160:161], v8 offset:2048              // 000000006DD0: DBC60800 A0000008
	ds_read_b64_tr_b16 a[162:163], v8 offset:2304              // 000000006DD8: DBC60900 A2000008
	v_mfma_f32_16x16x32_bf16 v[46:49], a[96:99], a[24:27], v[46:49]// 000000006DE0: D3B5002E 1CBA3160
	v_mul_f32_e32 v62, v16, v62                                // 000000006DE8: 0A7C7D10
	v_mul_f32_e32 v63, v16, v63                                // 000000006DEC: 0A7E7F10
	ds_read_b64_tr_b16 a[164:165], v9 offset:2048              // 000000006DF0: DBC60800 A4000009
	ds_read_b64_tr_b16 a[166:167], v9 offset:2304              // 000000006DF8: DBC60900 A6000009
	v_mfma_f32_16x16x32_bf16 v[46:49], a[100:103], a[28:31], v[46:49]// 000000006E00: D3B5002E 1CBA3964
	buffer_load_dwordx4 v32, s[20:23], 0 offen offset:384 lds  // 000000006E08: E05D1180 80050020
	s_add_i32 m0, m0, 0x3c0                                    // 000000006E10: 817CFF7C 000003C0
	v_mfma_f32_16x16x32_bf16 v[46:49], a[104:107], a[32:35], v[46:49]// 000000006E18: D3B5002E 1CBA4168
	v_mul_f32_e32 v64, v16, v64                                // 000000006E20: 0A808110
	v_mul_f32_e32 v65, v16, v65                                // 000000006E24: 0A828310
	ds_read_b64_tr_b16 a[168:169], v8 offset:3072              // 000000006E28: DBC60C00 A8000008
	ds_read_b64_tr_b16 a[170:171], v8 offset:3328              // 000000006E30: DBC60D00 AA000008
	v_mfma_f32_16x16x32_bf16 v[46:49], a[108:111], a[36:39], v[46:49]// 000000006E38: D3B5002E 1CBA496C
	v_mul_f32_e32 v66, v16, v66                                // 000000006E40: 0A848510
	v_mul_f32_e32 v67, v16, v67                                // 000000006E44: 0A868710
	ds_read_b64_tr_b16 a[172:173], v9 offset:3072              // 000000006E48: DBC60C00 AC000009
	ds_read_b64_tr_b16 a[174:175], v9 offset:3328              // 000000006E50: DBC60D00 AE000009
	v_mfma_f32_16x16x32_bf16 v[46:49], a[112:115], a[40:43], v[46:49]// 000000006E58: D3B5002E 1CBA5170
	v_mul_f32_e32 v68, v16, v68                                // 000000006E60: 0A888910
	v_mul_f32_e32 v69, v16, v69                                // 000000006E64: 0A8A8B10
	ds_read_b64_tr_b16 a[176:177], v8 offset:4096              // 000000006E68: DBC61000 B0000008
	ds_read_b64_tr_b16 a[178:179], v8 offset:4352              // 000000006E70: DBC61100 B2000008
	v_mfma_f32_16x16x32_bf16 v[46:49], a[116:119], a[44:47], v[46:49]// 000000006E78: D3B5002E 1CBA5974
	buffer_load_dwordx4 v32, s[20:23], 0 offen offset:448 lds  // 000000006E80: E05D11C0 80050020
	s_add_i32 m0, m0, 0x3c0                                    // 000000006E88: 817CFF7C 000003C0
	v_mul_f32_e32 v70, v16, v70                                // 000000006E90: 0A8C8D10
	v_mul_f32_e32 v71, v16, v71                                // 000000006E94: 0A8E8F10
	v_mfma_f32_16x16x32_bf16 v[46:49], a[120:123], a[48:51], v[46:49]// 000000006E98: D3B5002E 1CBA6178
	v_mul_f32_e32 v72, v16, v72                                // 000000006EA0: 0A909110
	v_mul_f32_e32 v73, v16, v73                                // 000000006EA4: 0A929310
	ds_read_b64_tr_b16 a[180:181], v9 offset:4096              // 000000006EA8: DBC61000 B4000009
	ds_read_b64_tr_b16 a[182:183], v9 offset:4352              // 000000006EB0: DBC61100 B6000009
	v_mfma_f32_16x16x32_bf16 v[46:49], a[124:127], a[52:55], v[46:49]// 000000006EB8: D3B5002E 1CBA697C
	v_mul_f32_e32 v74, v16, v74                                // 000000006EC0: 0A949510
	v_mul_f32_e32 v75, v16, v75                                // 000000006EC4: 0A969710
	ds_read_b64_tr_b16 a[184:185], v8 offset:5120              // 000000006EC8: DBC61400 B8000008
	ds_read_b64_tr_b16 a[186:187], v8 offset:5376              // 000000006ED0: DBC61500 BA000008
	v_mfma_f32_16x16x32_bf16 v[46:49], a[128:131], a[56:59], v[46:49]// 000000006ED8: D3B5002E 1CBA7180
	v_mul_f32_e32 v76, v16, v76                                // 000000006EE0: 0A989910
	v_mul_f32_e32 v77, v16, v77                                // 000000006EE4: 0A9A9B10
	ds_read_b64_tr_b16 a[188:189], v9 offset:5120              // 000000006EE8: DBC61400 BC000009
	ds_read_b64_tr_b16 a[190:191], v9 offset:5376              // 000000006EF0: DBC61500 BE000009
	v_mfma_f32_16x16x32_bf16 v[46:49], a[132:135], a[60:63], v[46:49]// 000000006EF8: D3B5002E 1CBA7984
	buffer_load_dwordx4 v32, s[20:23], 0 offen offset:512 lds  // 000000006F00: E05D1200 80050020
	s_add_i32 m0, m0, 0x3c0                                    // 000000006F08: 817CFF7C 000003C0
	v_mfma_f32_16x16x32_bf16 v[46:49], a[136:139], a[64:67], v[46:49]// 000000006F10: D3B5002E 1CBA8188
	v_mul_f32_e32 v78, v16, v78                                // 000000006F18: 0A9C9D10
	v_mul_f32_e32 v79, v16, v79                                // 000000006F1C: 0A9E9F10
	ds_read_b64_tr_b16 a[192:193], v8 offset:6144              // 000000006F20: DBC61800 C0000008
	ds_read_b64_tr_b16 a[194:195], v8 offset:6400              // 000000006F28: DBC61900 C2000008
	ds_read_b64_tr_b16 a[196:197], v9 offset:6144              // 000000006F30: DBC61800 C4000009
	ds_read_b64_tr_b16 a[198:199], v9 offset:6400              // 000000006F38: DBC61900 C6000009
	ds_read_b64_tr_b16 a[200:201], v8 offset:7168              // 000000006F40: DBC61C00 C8000008
	ds_read_b64_tr_b16 a[202:203], v8 offset:7424              // 000000006F48: DBC61D00 CA000008
	ds_read_b64_tr_b16 a[204:205], v9 offset:7168              // 000000006F50: DBC61C00 CC000009
	ds_read_b64_tr_b16 a[206:207], v9 offset:7424              // 000000006F58: DBC61D00 CE000009
	v_mov_b32_e32 v30, v16                                     // 000000006F60: 7E3C0310
	v_mov_b32_e32 v31, v16                                     // 000000006F64: 7E3E0310
	v_pk_mul_f32 v[80:81], v[30:31], v[80:81]                  // 000000006F68: D3B14050 1802A11E
	v_pk_mul_f32 v[82:83], v[30:31], v[82:83]                  // 000000006F70: D3B14052 1802A51E
	v_pk_mul_f32 v[84:85], v[30:31], v[84:85]                  // 000000006F78: D3B14054 1802A91E
	v_pk_mul_f32 v[86:87], v[30:31], v[86:87]                  // 000000006F80: D3B14056 1802AD1E
	v_pk_mul_f32 v[88:89], v[30:31], v[88:89]                  // 000000006F88: D3B14058 1802B11E
	v_pk_mul_f32 v[90:91], v[30:31], v[90:91]                  // 000000006F90: D3B1405A 1802B51E
	v_pk_mul_f32 v[92:93], v[30:31], v[92:93]                  // 000000006F98: D3B1405C 1802B91E
	v_pk_mul_f32 v[94:95], v[30:31], v[94:95]                  // 000000006FA0: D3B1405E 1802BD1E
	v_pk_mul_f32 v[96:97], v[30:31], v[96:97]                  // 000000006FA8: D3B14060 1802C11E
	v_pk_mul_f32 v[98:99], v[30:31], v[98:99]                  // 000000006FB0: D3B14062 1802C51E
	v_pk_mul_f32 v[100:101], v[30:31], v[100:101]              // 000000006FB8: D3B14064 1802C91E
	v_pk_mul_f32 v[102:103], v[30:31], v[102:103]              // 000000006FC0: D3B14066 1802CD1E
	v_pk_mul_f32 v[104:105], v[30:31], v[104:105]              // 000000006FC8: D3B14068 1802D11E
	v_pk_mul_f32 v[106:107], v[30:31], v[106:107]              // 000000006FD0: D3B1406A 1802D51E
	v_pk_mul_f32 v[108:109], v[30:31], v[108:109]              // 000000006FD8: D3B1406C 1802D91E
	v_pk_mul_f32 v[110:111], v[30:31], v[110:111]              // 000000006FE0: D3B1406E 1802DD1E
	v_pk_mul_f32 v[112:113], v[30:31], v[112:113]              // 000000006FE8: D3B14070 1802E11E
	v_pk_mul_f32 v[114:115], v[30:31], v[114:115]              // 000000006FF0: D3B14072 1802E51E
	v_pk_mul_f32 v[116:117], v[30:31], v[116:117]              // 000000006FF8: D3B14074 1802E91E
	v_pk_mul_f32 v[118:119], v[30:31], v[118:119]              // 000000007000: D3B14076 1802ED1E
	v_pk_mul_f32 v[120:121], v[30:31], v[120:121]              // 000000007008: D3B14078 1802F11E
	v_pk_mul_f32 v[122:123], v[30:31], v[122:123]              // 000000007010: D3B1407A 1802F51E
	v_pk_mul_f32 v[124:125], v[30:31], v[124:125]              // 000000007018: D3B1407C 1802F91E
	v_pk_mul_f32 v[126:127], v[30:31], v[126:127]              // 000000007020: D3B1407E 1802FD1E
	v_pk_mul_f32 v[128:129], v[30:31], v[128:129]              // 000000007028: D3B14080 1803011E
	v_pk_mul_f32 v[130:131], v[30:31], v[130:131]              // 000000007030: D3B14082 1803051E
	v_pk_mul_f32 v[132:133], v[30:31], v[132:133]              // 000000007038: D3B14084 1803091E
	v_pk_mul_f32 v[134:135], v[30:31], v[134:135]              // 000000007040: D3B14086 18030D1E
	v_pk_mul_f32 v[136:137], v[30:31], v[136:137]              // 000000007048: D3B14088 1803111E
	v_pk_mul_f32 v[138:139], v[30:31], v[138:139]              // 000000007050: D3B1408A 1803151E
	v_pk_mul_f32 v[140:141], v[30:31], v[140:141]              // 000000007058: D3B1408C 1803191E
	v_pk_mul_f32 v[142:143], v[30:31], v[142:143]              // 000000007060: D3B1408E 18031D1E
	v_pk_mul_f32 v[144:145], v[30:31], v[144:145]              // 000000007068: D3B14090 1803211E
	v_pk_mul_f32 v[146:147], v[30:31], v[146:147]              // 000000007070: D3B14092 1803251E
	v_pk_mul_f32 v[148:149], v[30:31], v[148:149]              // 000000007078: D3B14094 1803291E
	v_pk_mul_f32 v[150:151], v[30:31], v[150:151]              // 000000007080: D3B14096 18032D1E
	v_pk_mul_f32 v[152:153], v[30:31], v[152:153]              // 000000007088: D3B14098 1803311E
	v_pk_mul_f32 v[154:155], v[30:31], v[154:155]              // 000000007090: D3B1409A 1803351E
	v_pk_mul_f32 v[156:157], v[30:31], v[156:157]              // 000000007098: D3B1409C 1803391E
	v_pk_mul_f32 v[158:159], v[30:31], v[158:159]              // 0000000070A0: D3B1409E 18033D1E
	v_pk_mul_f32 v[160:161], v[30:31], v[160:161]              // 0000000070A8: D3B140A0 1803411E
	v_pk_mul_f32 v[162:163], v[30:31], v[162:163]              // 0000000070B0: D3B140A2 1803451E
	v_pk_mul_f32 v[164:165], v[30:31], v[164:165]              // 0000000070B8: D3B140A4 1803491E
	v_pk_mul_f32 v[166:167], v[30:31], v[166:167]              // 0000000070C0: D3B140A6 18034D1E
	v_pk_mul_f32 v[168:169], v[30:31], v[168:169]              // 0000000070C8: D3B140A8 1803511E
	v_pk_mul_f32 v[170:171], v[30:31], v[170:171]              // 0000000070D0: D3B140AA 1803551E
	v_pk_mul_f32 v[172:173], v[30:31], v[172:173]              // 0000000070D8: D3B140AC 1803591E
	v_pk_mul_f32 v[174:175], v[30:31], v[174:175]              // 0000000070E0: D3B140AE 18035D1E
	v_pk_mul_f32 v[176:177], v[30:31], v[176:177]              // 0000000070E8: D3B140B0 1803611E
	v_mfma_f32_16x16x32_bf16 v[46:49], a[140:143], a[68:71], v[46:49]// 0000000070F0: D3B5002E 1CBA898C
	s_addk_i32 s70, 0x1                                        // 0000000070F8: B7460001
	s_cmp_lt_i32 s70, s71                                      // 0000000070FC: BF044746
	s_cbranch_scc0 label_3B18                                  // 000000007100: BF84FB45
	s_waitcnt lgkmcnt(0)                                       // 000000007104: BF8CC07F
	v_mul_u32_u24_e64 v32, v24, s68                            // 000000007108: D1080020 00008918
	v_add_u32_e32 v32, v32, v1                                 // 000000007110: 68400320
	v_mfma_f32_16x16x32_bf16 v[50:53], a[144:147], v[34:37], v[50:53]// 000000007114: D3B50032 0CCA4590
	v_mov_b32_e32 v29, v42                                     // 00000000711C: 7E3A032A
	v_max3_f32 v29, v42, v43, v29                              // 000000007120: D1D3001D 0476572A
	v_mfma_f32_16x16x32_bf16 v[54:57], a[148:151], v[34:37], v[54:57]// 000000007128: D3B50036 0CDA4594
	ds_read_b64_tr_b16 a[144:145], v8 offset:8192              // 000000007130: DBC62000 90000008
	ds_read_b64_tr_b16 a[146:147], v8 offset:8448              // 000000007138: DBC62100 92000008
	v_mfma_f32_16x16x32_bf16 v[58:61], a[152:155], v[34:37], v[58:61]// 000000007140: D3B5003A 0CEA4598
	v_max3_f32 v29, v44, v45, v29                              // 000000007148: D1D3001D 04765B2C
	v_max3_f32 v29, v46, v47, v29                              // 000000007150: D1D3001D 04765F2E
	v_mfma_f32_16x16x32_bf16 v[62:65], a[156:159], v[34:37], v[62:65]// 000000007158: D3B5003E 0CFA459C
	ds_read_b64_tr_b16 a[148:149], v9 offset:8192              // 000000007160: DBC62000 94000009
	ds_read_b64_tr_b16 a[150:151], v9 offset:8448              // 000000007168: DBC62100 96000009
	v_mfma_f32_16x16x32_bf16 v[66:69], a[160:163], v[34:37], v[66:69]// 000000007170: D3B50042 0D0A45A0
	v_max3_f32 v29, v48, v49, v29                              // 000000007178: D1D3001D 04766330
	v_mov_b32_e32 v28, v29                                     // 000000007180: 7E38031D
	v_mfma_f32_16x16x32_bf16 v[70:73], a[164:167], v[34:37], v[70:73]// 000000007184: D3B50046 0D1A45A4
	ds_read_b64_tr_b16 a[152:153], v8 offset:9216              // 00000000718C: DBC62400 98000008
	ds_read_b64_tr_b16 a[154:155], v8 offset:9472              // 000000007194: DBC62500 9A000008
	v_mfma_f32_16x16x32_bf16 v[74:77], a[168:171], v[34:37], v[74:77]// 00000000719C: D3B5004A 0D2A45A8
	v_mov_b32_e32 v29, v29                                     // 0000000071A4: 7E3A031D
	s_nop 1                                                    // 0000000071A8: BF800001
	v_mfma_f32_16x16x32_bf16 v[78:81], a[172:175], v[34:37], v[78:81]// 0000000071AC: D3B5004E 0D3A45AC
	ds_read_b64_tr_b16 a[156:157], v9 offset:9216              // 0000000071B4: DBC62400 9C000009
	ds_read_b64_tr_b16 a[158:159], v9 offset:9472              // 0000000071BC: DBC62500 9E000009
	v_mfma_f32_16x16x32_bf16 v[82:85], a[176:179], v[34:37], v[82:85]// 0000000071C4: D3B50052 0D4A45B0
	v_permlane16_swap_b32_e32 v28, v29                         // 0000000071CC: 7E38B31D
	v_mfma_f32_16x16x32_bf16 v[86:89], a[180:183], v[34:37], v[86:89]// 0000000071D0: D3B50056 0D5A45B4
	ds_read_b64_tr_b16 a[160:161], v8 offset:10240             // 0000000071D8: DBC62800 A0000008
	ds_read_b64_tr_b16 a[162:163], v8 offset:10496             // 0000000071E0: DBC62900 A2000008
	v_mfma_f32_16x16x32_bf16 v[90:93], a[184:187], v[34:37], v[90:93]// 0000000071E8: D3B5005A 0D6A45B8
	v_mov_b32_e32 v31, v28                                     // 0000000071F0: 7E3E031C
	v_mov_b32_e32 v30, v29                                     // 0000000071F4: 7E3C031D
	v_mfma_f32_16x16x32_bf16 v[94:97], a[188:191], v[34:37], v[94:97]// 0000000071F8: D3B5005E 0D7A45BC
	ds_read_b64_tr_b16 a[164:165], v9 offset:10240             // 000000007200: DBC62800 A4000009
	ds_read_b64_tr_b16 a[166:167], v9 offset:10496             // 000000007208: DBC62900 A6000009
	v_mfma_f32_16x16x32_bf16 v[98:101], a[192:195], v[34:37], v[98:101]// 000000007210: D3B50062 0D8A45C0
	s_nop 1                                                    // 000000007218: BF800001
	v_permlane32_swap_b32_e32 v28, v29                         // 00000000721C: 7E38B51D
	v_mfma_f32_16x16x32_bf16 v[102:105], a[196:199], v[34:37], v[102:105]// 000000007220: D3B50066 0D9A45C4
	ds_read_b64_tr_b16 a[168:169], v8 offset:11264             // 000000007228: DBC62C00 A8000008
	ds_read_b64_tr_b16 a[170:171], v8 offset:11520             // 000000007230: DBC62D00 AA000008
	v_mfma_f32_16x16x32_bf16 v[106:109], a[200:203], v[34:37], v[106:109]// 000000007238: D3B5006A 0DAA45C8
	v_permlane32_swap_b32_e32 v30, v31                         // 000000007240: 7E3CB51F
	v_mfma_f32_16x16x32_bf16 v[110:113], a[204:207], v[34:37], v[110:113]// 000000007244: D3B5006E 0DBA45CC
	ds_read_b64_tr_b16 a[172:173], v9 offset:11264             // 00000000724C: DBC62C00 AC000009
	ds_read_b64_tr_b16 a[174:175], v9 offset:11520             // 000000007254: DBC62D00 AE000009
	ds_read_b64_tr_b16 a[176:177], v8 offset:12288             // 00000000725C: DBC63000 B0000008
	ds_read_b64_tr_b16 a[178:179], v8 offset:12544             // 000000007264: DBC63100 B2000008
	ds_read_b64_tr_b16 a[180:181], v9 offset:12288             // 00000000726C: DBC63000 B4000009
	ds_read_b64_tr_b16 a[182:183], v9 offset:12544             // 000000007274: DBC63100 B6000009
	ds_read_b64_tr_b16 a[184:185], v8 offset:13312             // 00000000727C: DBC63400 B8000008
	ds_read_b64_tr_b16 a[186:187], v8 offset:13568             // 000000007284: DBC63500 BA000008
	ds_read_b64_tr_b16 a[188:189], v9 offset:13312             // 00000000728C: DBC63400 BC000009
	ds_read_b64_tr_b16 a[190:191], v9 offset:13568             // 000000007294: DBC63500 BE000009
	s_waitcnt lgkmcnt(0)                                       // 00000000729C: BF8CC07F
	v_mfma_f32_16x16x32_bf16 v[114:117], a[144:147], v[34:37], v[114:117]// 0000000072A0: D3B50072 0DCA4590
	ds_read_b64_tr_b16 a[192:193], v8 offset:14336             // 0000000072A8: DBC63800 C0000008
	ds_read_b64_tr_b16 a[194:195], v8 offset:14592             // 0000000072B0: DBC63900 C2000008
	v_mfma_f32_16x16x32_bf16 v[118:121], a[148:151], v[34:37], v[118:121]// 0000000072B8: D3B50076 0DDA4594
	s_waitcnt vmcnt(10)                                        // 0000000072C0: BF8C0F7A
	s_barrier                                                  // 0000000072C4: BF8A0000
	ds_read_b128 a[72:75], v20                                 // 0000000072C8: DBFE0000 48000014
	ds_read_b128 a[76:79], v20 offset:1024                     // 0000000072D0: DBFE0400 4C000014
	v_mfma_f32_16x16x32_bf16 v[122:125], a[152:155], v[34:37], v[122:125]// 0000000072D8: D3B5007A 0DEA4598
	ds_read_b64_tr_b16 a[196:197], v9 offset:14336             // 0000000072E0: DBC63800 C4000009
	ds_read_b64_tr_b16 a[198:199], v9 offset:14592             // 0000000072E8: DBC63900 C6000009
	v_mfma_f32_16x16x32_bf16 v[126:129], a[156:159], v[34:37], v[126:129]// 0000000072F0: D3B5007E 0DFA459C
	ds_read_b128 a[80:83], v20 offset:2048                     // 0000000072F8: DBFE0800 50000014
	ds_read_b128 a[84:87], v20 offset:3072                     // 000000007300: DBFE0C00 54000014
	v_mfma_f32_16x16x32_bf16 v[130:133], a[160:163], v[34:37], v[130:133]// 000000007308: D3B50082 0E0A45A0
	ds_read_b64_tr_b16 a[200:201], v8 offset:15360             // 000000007310: DBC63C00 C8000008
	ds_read_b64_tr_b16 a[202:203], v8 offset:15616             // 000000007318: DBC63D00 CA000008
	v_mfma_f32_16x16x32_bf16 v[134:137], a[164:167], v[34:37], v[134:137]// 000000007320: D3B50086 0E1A45A4
	ds_read_b128 a[88:91], v20 offset:4096                     // 000000007328: DBFE1000 58000014
	ds_read_b128 a[92:95], v20 offset:5120                     // 000000007330: DBFE1400 5C000014
	v_mfma_f32_16x16x32_bf16 v[138:141], a[168:171], v[34:37], v[138:141]// 000000007338: D3B5008A 0E2A45A8
	ds_read_b64_tr_b16 a[204:205], v9 offset:15360             // 000000007340: DBC63C00 CC000009
	ds_read_b64_tr_b16 a[206:207], v9 offset:15616             // 000000007348: DBC63D00 CE000009
	v_mfma_f32_16x16x32_bf16 v[142:145], a[172:175], v[34:37], v[142:145]// 000000007350: D3B5008E 0E3A45AC
	ds_read_b128 a[96:99], v20 offset:6144                     // 000000007358: DBFE1800 60000014
	ds_read_b128 a[100:103], v20 offset:7168                   // 000000007360: DBFE1C00 64000014
	v_mfma_f32_16x16x32_bf16 v[146:149], a[176:179], v[34:37], v[146:149]// 000000007368: D3B50092 0E4A45B0
	v_max3_f32 v29, v28, v29, v29                              // 000000007370: D1D3001D 04763B1C
	v_max3_f32 v29, v30, v31, v29                              // 000000007378: D1D3001D 04763F1E
	v_mfma_f32_16x16x32_bf16 v[150:153], a[180:183], v[34:37], v[150:153]// 000000007380: D3B50096 0E5A45B4
	ds_read_b128 a[104:107], v20 offset:8192                   // 000000007388: DBFE2000 68000014
	ds_read_b128 a[108:111], v20 offset:9216                   // 000000007390: DBFE2400 6C000014
	v_mfma_f32_16x16x32_bf16 v[154:157], a[184:187], v[34:37], v[154:157]// 000000007398: D3B5009A 0E6A45B8
	v_mov_b32_e32 v28, 0xff800000                              // 0000000073A0: 7E3802FF FF800000
	v_cmp_eq_u32_e64 s[36:37], v28, v2                         // 0000000073A8: D0CA0024 0002051C
	v_mfma_f32_16x16x32_bf16 v[158:161], a[188:191], v[34:37], v[158:161]// 0000000073B0: D3B5009E 0E7A45BC
	ds_read_b128 a[112:115], v20 offset:10240                  // 0000000073B8: DBFE2800 70000014
	ds_read_b128 a[116:119], v20 offset:11264                  // 0000000073C0: DBFE2C00 74000014
	v_mfma_f32_16x16x32_bf16 v[162:165], a[192:195], v[34:37], v[162:165]// 0000000073C8: D3B500A2 0E8A45C0
	v_max_f32_e32 v29, v29, v2                                 // 0000000073D0: 163A051D
	v_sub_f32_e32 v16, v2, v29                                 // 0000000073D4: 04203B02
	v_mfma_f32_16x16x32_bf16 v[166:169], a[196:199], v[34:37], v[166:169]// 0000000073D8: D3B500A6 0E9A45C4
	ds_read_b128 a[120:123], v20 offset:12288                  // 0000000073E0: DBFE3000 78000014
	ds_read_b128 a[124:127], v20 offset:13312                  // 0000000073E8: DBFE3400 7C000014
	v_mfma_f32_16x16x32_bf16 v[170:173], a[200:203], v[34:37], v[170:173]// 0000000073F0: D3B500AA 0EAA45C8
	v_cndmask_b32_e64 v16, v16, 0, s[36:37]                    // 0000000073F8: D1000010 00910110
	v_mov_b32_e32 v2, v29                                      // 000000007400: 7E04031D
	v_mfma_f32_16x16x32_bf16 v[174:177], a[204:207], v[34:37], v[174:177]// 000000007404: D3B500AE 0EBA45CC
	ds_read_b128 a[128:131], v20 offset:14336                  // 00000000740C: DBFE3800 80000014
	ds_read_b128 a[132:135], v20 offset:15360                  // 000000007414: DBFE3C00 84000014
	ds_read_b128 a[136:139], v20 offset:16384                  // 00000000741C: DBFE4000 88000014
	ds_read_b128 a[140:143], v20 offset:17408                  // 000000007424: DBFE4400 8C000014
	s_waitcnt lgkmcnt(0)                                       // 00000000742C: BF8CC07F
	v_mfma_f32_16x16x32_bf16 v[34:37], a[72:75], a[0:3], 0     // 000000007430: D3B50022 1A020148
	buffer_load_dword v22, v26, s[24:27], 0 offen              // 000000007438: E0501000 8006161A
	v_mul_f32_e32 v29, s5, v29                                 // 000000007440: 0A3A3A05
	s_mov_b32 s56, 0x2000                                      // 000000007444: BEB800FF 00002000
	s_mul_i32 s57, s7, 0x2400                                  // 00000000744C: 9239FF07 00002400
	s_add_u32 m0, s56, s57                                     // 000000007454: 807C3938
	buffer_load_dwordx4 v32, s[20:23], 0 offen lds             // 000000007458: E05D1000 80050020
	s_add_i32 m0, m0, 0x3c0                                    // 000000007460: 817CFF7C 000003C0
	v_mfma_f32_16x16x32_bf16 v[34:37], a[76:79], a[4:7], v[34:37]// 000000007468: D3B50022 1C8A094C
	buffer_load_dwordx4 v32, s[20:23], 0 offen offset:64 lds   // 000000007470: E05D1040 80050020
	s_add_i32 m0, m0, 0x3c0                                    // 000000007478: 817CFF7C 000003C0
	v_mfma_f32_16x16x32_bf16 v[34:37], a[80:83], a[8:11], v[34:37]// 000000007480: D3B50022 1C8A1150
	v_mul_f32_e32 v16, s5, v16                                 // 000000007488: 0A202005
	v_exp_f32_e32 v16, v16                                     // 00000000748C: 7E204110
	v_mfma_f32_16x16x32_bf16 v[34:37], a[84:87], a[12:15], v[34:37]// 000000007490: D3B50022 1C8A1954
	v_add_u32_e32 v26, s73, v26                                // 000000007498: 68343449
	ds_read_b128 a[72:75], v20 offset:18432                    // 00000000749C: DBFE4800 48000014
	ds_read_b128 a[76:79], v20 offset:19456                    // 0000000074A4: DBFE4C00 4C000014
	v_fma_f32 v42, v42, s5, -v29                               // 0000000074AC: D1CB002A 84740B2A
	v_mfma_f32_16x16x32_bf16 v[34:37], a[88:91], a[16:19], v[34:37]// 0000000074B4: D3B50022 1C8A2158
	ds_read_b128 a[80:83], v20 offset:20480                    // 0000000074BC: DBFE5000 50000014
	ds_read_b128 a[84:87], v20 offset:21504                    // 0000000074C4: DBFE5400 54000014
	v_fma_f32 v43, v43, s5, -v29                               // 0000000074CC: D1CB002B 84740B2B
	v_mfma_f32_16x16x32_bf16 v[34:37], a[92:95], a[20:23], v[34:37]// 0000000074D4: D3B50022 1C8A295C
	buffer_load_dwordx4 v32, s[20:23], 0 offen offset:128 lds  // 0000000074DC: E05D1080 80050020
	s_add_i32 m0, m0, 0x3c0                                    // 0000000074E4: 817CFF7C 000003C0
	v_mfma_f32_16x16x32_bf16 v[34:37], a[96:99], a[24:27], v[34:37]// 0000000074EC: D3B50022 1C8A3160
	v_fma_f32 v44, v44, s5, -v29                               // 0000000074F4: D1CB002C 84740B2C
	v_fma_f32 v45, v45, s5, -v29                               // 0000000074FC: D1CB002D 84740B2D
	v_mfma_f32_16x16x32_bf16 v[34:37], a[100:103], a[28:31], v[34:37]// 000000007504: D3B50022 1C8A3964
	ds_read_b128 a[88:91], v20 offset:22528                    // 00000000750C: DBFE5800 58000014
	ds_read_b128 a[92:95], v20 offset:23552                    // 000000007514: DBFE5C00 5C000014
	v_fma_f32 v46, v46, s5, -v29                               // 00000000751C: D1CB002E 84740B2E
	v_mfma_f32_16x16x32_bf16 v[34:37], a[104:107], a[32:35], v[34:37]// 000000007524: D3B50022 1C8A4168
	ds_read_b128 a[96:99], v20 offset:24576                    // 00000000752C: DBFE6000 60000014
	ds_read_b128 a[100:103], v20 offset:25600                  // 000000007534: DBFE6400 64000014
	v_fma_f32 v47, v47, s5, -v29                               // 00000000753C: D1CB002F 84740B2F
	v_mfma_f32_16x16x32_bf16 v[34:37], a[108:111], a[36:39], v[34:37]// 000000007544: D3B50022 1C8A496C
	buffer_load_dwordx4 v32, s[20:23], 0 offen offset:192 lds  // 00000000754C: E05D10C0 80050020
	s_add_i32 m0, m0, 0x3c0                                    // 000000007554: 817CFF7C 000003C0
	v_mfma_f32_16x16x32_bf16 v[34:37], a[112:115], a[40:43], v[34:37]// 00000000755C: D3B50022 1C8A5170
	v_fma_f32 v48, v48, s5, -v29                               // 000000007564: D1CB0030 84740B30
	v_fma_f32 v49, v49, s5, -v29                               // 00000000756C: D1CB0031 84740B31
	v_mfma_f32_16x16x32_bf16 v[34:37], a[116:119], a[44:47], v[34:37]// 000000007574: D3B50022 1C8A5974
	v_exp_f32_e32 v42, v42                                     // 00000000757C: 7E54412A
	v_mfma_f32_16x16x32_bf16 v[34:37], a[120:123], a[48:51], v[34:37]// 000000007580: D3B50022 1C8A6178
	ds_read_b128 a[104:107], v20 offset:26624                  // 000000007588: DBFE6800 68000014
	ds_read_b128 a[108:111], v20 offset:27648                  // 000000007590: DBFE6C00 6C000014
	v_exp_f32_e32 v43, v43                                     // 000000007598: 7E56412B
	v_mfma_f32_16x16x32_bf16 v[34:37], a[124:127], a[52:55], v[34:37]// 00000000759C: D3B50022 1C8A697C
	buffer_load_dwordx4 v32, s[20:23], 0 offen offset:256 lds  // 0000000075A4: E05D1100 80050020
	s_add_i32 m0, m0, 0x3c0                                    // 0000000075AC: 817CFF7C 000003C0
	v_mfma_f32_16x16x32_bf16 v[34:37], a[128:131], a[56:59], v[34:37]// 0000000075B4: D3B50022 1C8A7180
	v_exp_f32_e32 v44, v44                                     // 0000000075BC: 7E58412C
	v_mfma_f32_16x16x32_bf16 v[34:37], a[132:135], a[60:63], v[34:37]// 0000000075C0: D3B50022 1C8A7984
	ds_read_b128 a[112:115], v20 offset:28672                  // 0000000075C8: DBFE7000 70000014
	ds_read_b128 a[116:119], v20 offset:29696                  // 0000000075D0: DBFE7400 74000014
	v_exp_f32_e32 v45, v45                                     // 0000000075D8: 7E5A412D
	v_mfma_f32_16x16x32_bf16 v[34:37], a[136:139], a[64:67], v[34:37]// 0000000075DC: D3B50022 1C8A8188
	ds_read_b128 a[120:123], v20 offset:30720                  // 0000000075E4: DBFE7800 78000014
	ds_read_b128 a[124:127], v20 offset:31744                  // 0000000075EC: DBFE7C00 7C000014
	v_exp_f32_e32 v46, v46                                     // 0000000075F4: 7E5C412E
	v_mfma_f32_16x16x32_bf16 v[34:37], a[140:143], a[68:71], v[34:37]// 0000000075F8: D3B50022 1C8A898C
	ds_read_b128 a[128:131], v20 offset:32768                  // 000000007600: DBFE8000 80000014
	ds_read_b128 a[132:135], v20 offset:33792                  // 000000007608: DBFE8400 84000014
	v_exp_f32_e32 v47, v47                                     // 000000007610: 7E5E412F
	ds_read_b128 a[136:139], v20 offset:34816                  // 000000007614: DBFE8800 88000014
	ds_read_b128 a[140:143], v20 offset:35840                  // 00000000761C: DBFE8C00 8C000014
	v_exp_f32_e32 v48, v48                                     // 000000007624: 7E604130
	v_exp_f32_e32 v49, v49                                     // 000000007628: 7E624131
	v_mul_f32_e32 v4, v16, v4                                  // 00000000762C: 0A080910
	v_mov_b32_e32 v28, v42                                     // 000000007630: 7E38032A
	v_add_f32_e32 v28, v43, v28                                // 000000007634: 0238392B
	v_add_f32_e32 v28, v44, v28                                // 000000007638: 0238392C
	v_add_f32_e32 v28, v45, v28                                // 00000000763C: 0238392D
	v_add_f32_e32 v28, v46, v28                                // 000000007640: 0238392E
	v_add_f32_e32 v28, v47, v28                                // 000000007644: 0238392F
	v_add_f32_e32 v28, v48, v28                                // 000000007648: 02383930
	v_add_f32_e32 v28, v49, v28                                // 00000000764C: 02383931
	v_add_f32_e32 v4, v28, v4                                  // 000000007650: 0208091C
	v_cvt_pk_bf16_f32 v42, v42, v43                            // 000000007654: D268002A 0002572A
	v_cvt_pk_bf16_f32 v43, v44, v45                            // 00000000765C: D268002B 00025B2C
	v_cvt_pk_bf16_f32 v44, v46, v47                            // 000000007664: D268002C 00025F2E
	v_cvt_pk_bf16_f32 v45, v48, v49                            // 00000000766C: D268002D 00026330
	s_nop 0                                                    // 000000007674: BF800000
	v_permlane32_swap_b32_e32 v42, v44                         // 000000007678: 7E54B52C
	v_permlane32_swap_b32_e32 v43, v45                         // 00000000767C: 7E56B52D
	s_nop 0                                                    // 000000007680: BF800000
	v_permlane16_swap_b32_e32 v42, v44                         // 000000007684: 7E54B32C
	v_permlane16_swap_b32_e32 v43, v45                         // 000000007688: 7E56B32D
	s_waitcnt lgkmcnt(0)                                       // 00000000768C: BF8CC07F
	v_mfma_f32_16x16x32_bf16 v[38:41], a[72:75], a[0:3], 0     // 000000007690: D3B50026 1A020148
	v_mul_f32_e32 v50, v16, v50                                // 000000007698: 0A646510
	v_mul_f32_e32 v51, v16, v51                                // 00000000769C: 0A666710
	ds_read_b64_tr_b16 a[144:145], v10                         // 0000000076A0: DBC60000 9000000A
	ds_read_b64_tr_b16 a[146:147], v10 offset:256              // 0000000076A8: DBC60100 9200000A
	v_mfma_f32_16x16x32_bf16 v[38:41], a[76:79], a[4:7], v[38:41]// 0000000076B0: D3B50026 1C9A094C
	buffer_load_dwordx4 v32, s[20:23], 0 offen offset:320 lds  // 0000000076B8: E05D1140 80050020
	s_add_i32 m0, m0, 0x3c0                                    // 0000000076C0: 817CFF7C 000003C0
	v_mul_f32_e32 v52, v16, v52                                // 0000000076C8: 0A686910
	v_mul_f32_e32 v53, v16, v53                                // 0000000076CC: 0A6A6B10
	v_mfma_f32_16x16x32_bf16 v[38:41], a[80:83], a[8:11], v[38:41]// 0000000076D0: D3B50026 1C9A1150
	v_mul_f32_e32 v54, v16, v54                                // 0000000076D8: 0A6C6D10
	v_mul_f32_e32 v55, v16, v55                                // 0000000076DC: 0A6E6F10
	ds_read_b64_tr_b16 a[148:149], v11                         // 0000000076E0: DBC60000 9400000B
	ds_read_b64_tr_b16 a[150:151], v11 offset:256              // 0000000076E8: DBC60100 9600000B
	v_mfma_f32_16x16x32_bf16 v[38:41], a[84:87], a[12:15], v[38:41]// 0000000076F0: D3B50026 1C9A1954
	v_mul_f32_e32 v56, v16, v56                                // 0000000076F8: 0A707110
	v_mul_f32_e32 v57, v16, v57                                // 0000000076FC: 0A727310
	ds_read_b64_tr_b16 a[152:153], v10 offset:1024             // 000000007700: DBC60400 9800000A
	ds_read_b64_tr_b16 a[154:155], v10 offset:1280             // 000000007708: DBC60500 9A00000A
	v_mfma_f32_16x16x32_bf16 v[38:41], a[88:91], a[16:19], v[38:41]// 000000007710: D3B50026 1C9A2158
	v_mul_f32_e32 v58, v16, v58                                // 000000007718: 0A747510
	v_mul_f32_e32 v59, v16, v59                                // 00000000771C: 0A767710
	ds_read_b64_tr_b16 a[156:157], v11 offset:1024             // 000000007720: DBC60400 9C00000B
	ds_read_b64_tr_b16 a[158:159], v11 offset:1280             // 000000007728: DBC60500 9E00000B
	v_mfma_f32_16x16x32_bf16 v[38:41], a[92:95], a[20:23], v[38:41]// 000000007730: D3B50026 1C9A295C
	v_mul_f32_e32 v60, v16, v60                                // 000000007738: 0A787910
	v_mul_f32_e32 v61, v16, v61                                // 00000000773C: 0A7A7B10
	ds_read_b64_tr_b16 a[160:161], v10 offset:2048             // 000000007740: DBC60800 A000000A
	ds_read_b64_tr_b16 a[162:163], v10 offset:2304             // 000000007748: DBC60900 A200000A
	v_mfma_f32_16x16x32_bf16 v[38:41], a[96:99], a[24:27], v[38:41]// 000000007750: D3B50026 1C9A3160
	v_mul_f32_e32 v62, v16, v62                                // 000000007758: 0A7C7D10
	v_mul_f32_e32 v63, v16, v63                                // 00000000775C: 0A7E7F10
	ds_read_b64_tr_b16 a[164:165], v11 offset:2048             // 000000007760: DBC60800 A400000B
	ds_read_b64_tr_b16 a[166:167], v11 offset:2304             // 000000007768: DBC60900 A600000B
	v_mfma_f32_16x16x32_bf16 v[38:41], a[100:103], a[28:31], v[38:41]// 000000007770: D3B50026 1C9A3964
	buffer_load_dwordx4 v32, s[20:23], 0 offen offset:384 lds  // 000000007778: E05D1180 80050020
	s_add_i32 m0, m0, 0x3c0                                    // 000000007780: 817CFF7C 000003C0
	v_mfma_f32_16x16x32_bf16 v[38:41], a[104:107], a[32:35], v[38:41]// 000000007788: D3B50026 1C9A4168
	v_mul_f32_e32 v64, v16, v64                                // 000000007790: 0A808110
	v_mul_f32_e32 v65, v16, v65                                // 000000007794: 0A828310
	ds_read_b64_tr_b16 a[168:169], v10 offset:3072             // 000000007798: DBC60C00 A800000A
	ds_read_b64_tr_b16 a[170:171], v10 offset:3328             // 0000000077A0: DBC60D00 AA00000A
	v_mfma_f32_16x16x32_bf16 v[38:41], a[108:111], a[36:39], v[38:41]// 0000000077A8: D3B50026 1C9A496C
	v_mul_f32_e32 v66, v16, v66                                // 0000000077B0: 0A848510
	v_mul_f32_e32 v67, v16, v67                                // 0000000077B4: 0A868710
	ds_read_b64_tr_b16 a[172:173], v11 offset:3072             // 0000000077B8: DBC60C00 AC00000B
	ds_read_b64_tr_b16 a[174:175], v11 offset:3328             // 0000000077C0: DBC60D00 AE00000B
	v_mfma_f32_16x16x32_bf16 v[38:41], a[112:115], a[40:43], v[38:41]// 0000000077C8: D3B50026 1C9A5170
	v_mul_f32_e32 v68, v16, v68                                // 0000000077D0: 0A888910
	v_mul_f32_e32 v69, v16, v69                                // 0000000077D4: 0A8A8B10
	ds_read_b64_tr_b16 a[176:177], v10 offset:4096             // 0000000077D8: DBC61000 B000000A
	ds_read_b64_tr_b16 a[178:179], v10 offset:4352             // 0000000077E0: DBC61100 B200000A
	v_mfma_f32_16x16x32_bf16 v[38:41], a[116:119], a[44:47], v[38:41]// 0000000077E8: D3B50026 1C9A5974
	buffer_load_dwordx4 v32, s[20:23], 0 offen offset:448 lds  // 0000000077F0: E05D11C0 80050020
	s_add_i32 m0, m0, 0x3c0                                    // 0000000077F8: 817CFF7C 000003C0
	v_mul_f32_e32 v70, v16, v70                                // 000000007800: 0A8C8D10
	v_mul_f32_e32 v71, v16, v71                                // 000000007804: 0A8E8F10
	v_mfma_f32_16x16x32_bf16 v[38:41], a[120:123], a[48:51], v[38:41]// 000000007808: D3B50026 1C9A6178
	v_mul_f32_e32 v72, v16, v72                                // 000000007810: 0A909110
	v_mul_f32_e32 v73, v16, v73                                // 000000007814: 0A929310
	ds_read_b64_tr_b16 a[180:181], v11 offset:4096             // 000000007818: DBC61000 B400000B
	ds_read_b64_tr_b16 a[182:183], v11 offset:4352             // 000000007820: DBC61100 B600000B
	v_mfma_f32_16x16x32_bf16 v[38:41], a[124:127], a[52:55], v[38:41]// 000000007828: D3B50026 1C9A697C
	v_mul_f32_e32 v74, v16, v74                                // 000000007830: 0A949510
	v_mul_f32_e32 v75, v16, v75                                // 000000007834: 0A969710
	ds_read_b64_tr_b16 a[184:185], v10 offset:5120             // 000000007838: DBC61400 B800000A
	ds_read_b64_tr_b16 a[186:187], v10 offset:5376             // 000000007840: DBC61500 BA00000A
	v_mfma_f32_16x16x32_bf16 v[38:41], a[128:131], a[56:59], v[38:41]// 000000007848: D3B50026 1C9A7180
	v_mul_f32_e32 v76, v16, v76                                // 000000007850: 0A989910
	v_mul_f32_e32 v77, v16, v77                                // 000000007854: 0A9A9B10
	ds_read_b64_tr_b16 a[188:189], v11 offset:5120             // 000000007858: DBC61400 BC00000B
	ds_read_b64_tr_b16 a[190:191], v11 offset:5376             // 000000007860: DBC61500 BE00000B
	v_mfma_f32_16x16x32_bf16 v[38:41], a[132:135], a[60:63], v[38:41]// 000000007868: D3B50026 1C9A7984
	buffer_load_dwordx4 v32, s[20:23], 0 offen offset:512 lds  // 000000007870: E05D1200 80050020
	s_add_i32 m0, m0, 0x3c0                                    // 000000007878: 817CFF7C 000003C0
	v_mfma_f32_16x16x32_bf16 v[38:41], a[136:139], a[64:67], v[38:41]// 000000007880: D3B50026 1C9A8188
	v_mul_f32_e32 v78, v16, v78                                // 000000007888: 0A9C9D10
	v_mul_f32_e32 v79, v16, v79                                // 00000000788C: 0A9E9F10
	ds_read_b64_tr_b16 a[192:193], v10 offset:6144             // 000000007890: DBC61800 C000000A
	ds_read_b64_tr_b16 a[194:195], v10 offset:6400             // 000000007898: DBC61900 C200000A
	ds_read_b64_tr_b16 a[196:197], v11 offset:6144             // 0000000078A0: DBC61800 C400000B
	ds_read_b64_tr_b16 a[198:199], v11 offset:6400             // 0000000078A8: DBC61900 C600000B
	ds_read_b64_tr_b16 a[200:201], v10 offset:7168             // 0000000078B0: DBC61C00 C800000A
	ds_read_b64_tr_b16 a[202:203], v10 offset:7424             // 0000000078B8: DBC61D00 CA00000A
	ds_read_b64_tr_b16 a[204:205], v11 offset:7168             // 0000000078C0: DBC61C00 CC00000B
	ds_read_b64_tr_b16 a[206:207], v11 offset:7424             // 0000000078C8: DBC61D00 CE00000B
	v_mov_b32_e32 v30, v16                                     // 0000000078D0: 7E3C0310
	v_mov_b32_e32 v31, v16                                     // 0000000078D4: 7E3E0310
	v_pk_mul_f32 v[80:81], v[30:31], v[80:81]                  // 0000000078D8: D3B14050 1802A11E
	v_pk_mul_f32 v[82:83], v[30:31], v[82:83]                  // 0000000078E0: D3B14052 1802A51E
	v_pk_mul_f32 v[84:85], v[30:31], v[84:85]                  // 0000000078E8: D3B14054 1802A91E
	v_pk_mul_f32 v[86:87], v[30:31], v[86:87]                  // 0000000078F0: D3B14056 1802AD1E
	v_pk_mul_f32 v[88:89], v[30:31], v[88:89]                  // 0000000078F8: D3B14058 1802B11E
	v_pk_mul_f32 v[90:91], v[30:31], v[90:91]                  // 000000007900: D3B1405A 1802B51E
	v_pk_mul_f32 v[92:93], v[30:31], v[92:93]                  // 000000007908: D3B1405C 1802B91E
	v_pk_mul_f32 v[94:95], v[30:31], v[94:95]                  // 000000007910: D3B1405E 1802BD1E
	v_pk_mul_f32 v[96:97], v[30:31], v[96:97]                  // 000000007918: D3B14060 1802C11E
	v_pk_mul_f32 v[98:99], v[30:31], v[98:99]                  // 000000007920: D3B14062 1802C51E
	v_pk_mul_f32 v[100:101], v[30:31], v[100:101]              // 000000007928: D3B14064 1802C91E
	v_pk_mul_f32 v[102:103], v[30:31], v[102:103]              // 000000007930: D3B14066 1802CD1E
	v_pk_mul_f32 v[104:105], v[30:31], v[104:105]              // 000000007938: D3B14068 1802D11E
	v_pk_mul_f32 v[106:107], v[30:31], v[106:107]              // 000000007940: D3B1406A 1802D51E
	v_pk_mul_f32 v[108:109], v[30:31], v[108:109]              // 000000007948: D3B1406C 1802D91E
	v_pk_mul_f32 v[110:111], v[30:31], v[110:111]              // 000000007950: D3B1406E 1802DD1E
	v_pk_mul_f32 v[112:113], v[30:31], v[112:113]              // 000000007958: D3B14070 1802E11E
	v_pk_mul_f32 v[114:115], v[30:31], v[114:115]              // 000000007960: D3B14072 1802E51E
	v_pk_mul_f32 v[116:117], v[30:31], v[116:117]              // 000000007968: D3B14074 1802E91E
	v_pk_mul_f32 v[118:119], v[30:31], v[118:119]              // 000000007970: D3B14076 1802ED1E
	v_pk_mul_f32 v[120:121], v[30:31], v[120:121]              // 000000007978: D3B14078 1802F11E
	v_pk_mul_f32 v[122:123], v[30:31], v[122:123]              // 000000007980: D3B1407A 1802F51E
	v_pk_mul_f32 v[124:125], v[30:31], v[124:125]              // 000000007988: D3B1407C 1802F91E
	v_pk_mul_f32 v[126:127], v[30:31], v[126:127]              // 000000007990: D3B1407E 1802FD1E
	v_pk_mul_f32 v[128:129], v[30:31], v[128:129]              // 000000007998: D3B14080 1803011E
	v_pk_mul_f32 v[130:131], v[30:31], v[130:131]              // 0000000079A0: D3B14082 1803051E
	v_pk_mul_f32 v[132:133], v[30:31], v[132:133]              // 0000000079A8: D3B14084 1803091E
	v_pk_mul_f32 v[134:135], v[30:31], v[134:135]              // 0000000079B0: D3B14086 18030D1E
	v_pk_mul_f32 v[136:137], v[30:31], v[136:137]              // 0000000079B8: D3B14088 1803111E
	v_pk_mul_f32 v[138:139], v[30:31], v[138:139]              // 0000000079C0: D3B1408A 1803151E
	v_pk_mul_f32 v[140:141], v[30:31], v[140:141]              // 0000000079C8: D3B1408C 1803191E
	v_pk_mul_f32 v[142:143], v[30:31], v[142:143]              // 0000000079D0: D3B1408E 18031D1E
	v_pk_mul_f32 v[144:145], v[30:31], v[144:145]              // 0000000079D8: D3B14090 1803211E
	v_pk_mul_f32 v[146:147], v[30:31], v[146:147]              // 0000000079E0: D3B14092 1803251E
	v_pk_mul_f32 v[148:149], v[30:31], v[148:149]              // 0000000079E8: D3B14094 1803291E
	v_pk_mul_f32 v[150:151], v[30:31], v[150:151]              // 0000000079F0: D3B14096 18032D1E
	v_pk_mul_f32 v[152:153], v[30:31], v[152:153]              // 0000000079F8: D3B14098 1803311E
	v_pk_mul_f32 v[154:155], v[30:31], v[154:155]              // 000000007A00: D3B1409A 1803351E
	v_pk_mul_f32 v[156:157], v[30:31], v[156:157]              // 000000007A08: D3B1409C 1803391E
	v_pk_mul_f32 v[158:159], v[30:31], v[158:159]              // 000000007A10: D3B1409E 18033D1E
	v_pk_mul_f32 v[160:161], v[30:31], v[160:161]              // 000000007A18: D3B140A0 1803411E
	v_pk_mul_f32 v[162:163], v[30:31], v[162:163]              // 000000007A20: D3B140A2 1803451E
	v_pk_mul_f32 v[164:165], v[30:31], v[164:165]              // 000000007A28: D3B140A4 1803491E
	v_pk_mul_f32 v[166:167], v[30:31], v[166:167]              // 000000007A30: D3B140A6 18034D1E
	v_pk_mul_f32 v[168:169], v[30:31], v[168:169]              // 000000007A38: D3B140A8 1803511E
	v_pk_mul_f32 v[170:171], v[30:31], v[170:171]              // 000000007A40: D3B140AA 1803551E
	v_pk_mul_f32 v[172:173], v[30:31], v[172:173]              // 000000007A48: D3B140AC 1803591E
	v_pk_mul_f32 v[174:175], v[30:31], v[174:175]              // 000000007A50: D3B140AE 18035D1E
	v_pk_mul_f32 v[176:177], v[30:31], v[176:177]              // 000000007A58: D3B140B0 1803611E
	v_mfma_f32_16x16x32_bf16 v[38:41], a[140:143], a[68:71], v[38:41]// 000000007A60: D3B50026 1C9A898C
	s_addk_i32 s70, 0x1                                        // 000000007A68: B7460001
	s_cmp_lt_i32 s70, s71                                      // 000000007A6C: BF044746
	s_cbranch_scc0 label_3B18                                  // 000000007A70: BF84F8E9
	s_waitcnt lgkmcnt(0)                                       // 000000007A74: BF8CC07F
	v_mul_u32_u24_e64 v32, v25, s68                            // 000000007A78: D1080020 00008919
	v_add_u32_e32 v32, v32, v1                                 // 000000007A80: 68400320
	v_mfma_f32_16x16x32_bf16 v[50:53], a[144:147], v[42:45], v[50:53]// 000000007A84: D3B50032 0CCA5590
	v_mov_b32_e32 v29, v34                                     // 000000007A8C: 7E3A0322
	v_max3_f32 v29, v34, v35, v29                              // 000000007A90: D1D3001D 04764722
	v_mfma_f32_16x16x32_bf16 v[54:57], a[148:151], v[42:45], v[54:57]// 000000007A98: D3B50036 0CDA5594
	ds_read_b64_tr_b16 a[144:145], v10 offset:8192             // 000000007AA0: DBC62000 9000000A
	ds_read_b64_tr_b16 a[146:147], v10 offset:8448             // 000000007AA8: DBC62100 9200000A
	v_mfma_f32_16x16x32_bf16 v[58:61], a[152:155], v[42:45], v[58:61]// 000000007AB0: D3B5003A 0CEA5598
	v_max3_f32 v29, v36, v37, v29                              // 000000007AB8: D1D3001D 04764B24
	v_max3_f32 v29, v38, v39, v29                              // 000000007AC0: D1D3001D 04764F26
	v_mfma_f32_16x16x32_bf16 v[62:65], a[156:159], v[42:45], v[62:65]// 000000007AC8: D3B5003E 0CFA559C
	ds_read_b64_tr_b16 a[148:149], v11 offset:8192             // 000000007AD0: DBC62000 9400000B
	ds_read_b64_tr_b16 a[150:151], v11 offset:8448             // 000000007AD8: DBC62100 9600000B
	v_mfma_f32_16x16x32_bf16 v[66:69], a[160:163], v[42:45], v[66:69]// 000000007AE0: D3B50042 0D0A55A0
	v_max3_f32 v29, v40, v41, v29                              // 000000007AE8: D1D3001D 04765328
	v_mov_b32_e32 v28, v29                                     // 000000007AF0: 7E38031D
	v_mfma_f32_16x16x32_bf16 v[70:73], a[164:167], v[42:45], v[70:73]// 000000007AF4: D3B50046 0D1A55A4
	ds_read_b64_tr_b16 a[152:153], v10 offset:9216             // 000000007AFC: DBC62400 9800000A
	ds_read_b64_tr_b16 a[154:155], v10 offset:9472             // 000000007B04: DBC62500 9A00000A
	v_mfma_f32_16x16x32_bf16 v[74:77], a[168:171], v[42:45], v[74:77]// 000000007B0C: D3B5004A 0D2A55A8
	v_mov_b32_e32 v29, v29                                     // 000000007B14: 7E3A031D
	s_nop 1                                                    // 000000007B18: BF800001
	v_mfma_f32_16x16x32_bf16 v[78:81], a[172:175], v[42:45], v[78:81]// 000000007B1C: D3B5004E 0D3A55AC
	ds_read_b64_tr_b16 a[156:157], v11 offset:9216             // 000000007B24: DBC62400 9C00000B
	ds_read_b64_tr_b16 a[158:159], v11 offset:9472             // 000000007B2C: DBC62500 9E00000B
	v_mfma_f32_16x16x32_bf16 v[82:85], a[176:179], v[42:45], v[82:85]// 000000007B34: D3B50052 0D4A55B0
	v_permlane16_swap_b32_e32 v28, v29                         // 000000007B3C: 7E38B31D
	v_mfma_f32_16x16x32_bf16 v[86:89], a[180:183], v[42:45], v[86:89]// 000000007B40: D3B50056 0D5A55B4
	ds_read_b64_tr_b16 a[160:161], v10 offset:10240            // 000000007B48: DBC62800 A000000A
	ds_read_b64_tr_b16 a[162:163], v10 offset:10496            // 000000007B50: DBC62900 A200000A
	v_mfma_f32_16x16x32_bf16 v[90:93], a[184:187], v[42:45], v[90:93]// 000000007B58: D3B5005A 0D6A55B8
	v_mov_b32_e32 v31, v28                                     // 000000007B60: 7E3E031C
	v_mov_b32_e32 v30, v29                                     // 000000007B64: 7E3C031D
	v_mfma_f32_16x16x32_bf16 v[94:97], a[188:191], v[42:45], v[94:97]// 000000007B68: D3B5005E 0D7A55BC
	ds_read_b64_tr_b16 a[164:165], v11 offset:10240            // 000000007B70: DBC62800 A400000B
	ds_read_b64_tr_b16 a[166:167], v11 offset:10496            // 000000007B78: DBC62900 A600000B
	v_mfma_f32_16x16x32_bf16 v[98:101], a[192:195], v[42:45], v[98:101]// 000000007B80: D3B50062 0D8A55C0
	s_nop 1                                                    // 000000007B88: BF800001
	v_permlane32_swap_b32_e32 v28, v29                         // 000000007B8C: 7E38B51D
	v_mfma_f32_16x16x32_bf16 v[102:105], a[196:199], v[42:45], v[102:105]// 000000007B90: D3B50066 0D9A55C4
	ds_read_b64_tr_b16 a[168:169], v10 offset:11264            // 000000007B98: DBC62C00 A800000A
	ds_read_b64_tr_b16 a[170:171], v10 offset:11520            // 000000007BA0: DBC62D00 AA00000A
	v_mfma_f32_16x16x32_bf16 v[106:109], a[200:203], v[42:45], v[106:109]// 000000007BA8: D3B5006A 0DAA55C8
	v_permlane32_swap_b32_e32 v30, v31                         // 000000007BB0: 7E3CB51F
	v_mfma_f32_16x16x32_bf16 v[110:113], a[204:207], v[42:45], v[110:113]// 000000007BB4: D3B5006E 0DBA55CC
	ds_read_b64_tr_b16 a[172:173], v11 offset:11264            // 000000007BBC: DBC62C00 AC00000B
	ds_read_b64_tr_b16 a[174:175], v11 offset:11520            // 000000007BC4: DBC62D00 AE00000B
	ds_read_b64_tr_b16 a[176:177], v10 offset:12288            // 000000007BCC: DBC63000 B000000A
	ds_read_b64_tr_b16 a[178:179], v10 offset:12544            // 000000007BD4: DBC63100 B200000A
	ds_read_b64_tr_b16 a[180:181], v11 offset:12288            // 000000007BDC: DBC63000 B400000B
	ds_read_b64_tr_b16 a[182:183], v11 offset:12544            // 000000007BE4: DBC63100 B600000B
	ds_read_b64_tr_b16 a[184:185], v10 offset:13312            // 000000007BEC: DBC63400 B800000A
	ds_read_b64_tr_b16 a[186:187], v10 offset:13568            // 000000007BF4: DBC63500 BA00000A
	ds_read_b64_tr_b16 a[188:189], v11 offset:13312            // 000000007BFC: DBC63400 BC00000B
	ds_read_b64_tr_b16 a[190:191], v11 offset:13568            // 000000007C04: DBC63500 BE00000B
	s_waitcnt lgkmcnt(0)                                       // 000000007C0C: BF8CC07F
	v_mfma_f32_16x16x32_bf16 v[114:117], a[144:147], v[42:45], v[114:117]// 000000007C10: D3B50072 0DCA5590
	ds_read_b64_tr_b16 a[192:193], v10 offset:14336            // 000000007C18: DBC63800 C000000A
	ds_read_b64_tr_b16 a[194:195], v10 offset:14592            // 000000007C20: DBC63900 C200000A
	v_mfma_f32_16x16x32_bf16 v[118:121], a[148:151], v[42:45], v[118:121]// 000000007C28: D3B50076 0DDA5594
	s_waitcnt vmcnt(10)                                        // 000000007C30: BF8C0F7A
	s_barrier                                                  // 000000007C34: BF8A0000
	ds_read_b128 a[72:75], v21                                 // 000000007C38: DBFE0000 48000015
	ds_read_b128 a[76:79], v21 offset:1024                     // 000000007C40: DBFE0400 4C000015
	v_mfma_f32_16x16x32_bf16 v[122:125], a[152:155], v[42:45], v[122:125]// 000000007C48: D3B5007A 0DEA5598
	ds_read_b64_tr_b16 a[196:197], v11 offset:14336            // 000000007C50: DBC63800 C400000B
	ds_read_b64_tr_b16 a[198:199], v11 offset:14592            // 000000007C58: DBC63900 C600000B
	v_mfma_f32_16x16x32_bf16 v[126:129], a[156:159], v[42:45], v[126:129]// 000000007C60: D3B5007E 0DFA559C
	ds_read_b128 a[80:83], v21 offset:2048                     // 000000007C68: DBFE0800 50000015
	ds_read_b128 a[84:87], v21 offset:3072                     // 000000007C70: DBFE0C00 54000015
	v_mfma_f32_16x16x32_bf16 v[130:133], a[160:163], v[42:45], v[130:133]// 000000007C78: D3B50082 0E0A55A0
	ds_read_b64_tr_b16 a[200:201], v10 offset:15360            // 000000007C80: DBC63C00 C800000A
	ds_read_b64_tr_b16 a[202:203], v10 offset:15616            // 000000007C88: DBC63D00 CA00000A
	v_mfma_f32_16x16x32_bf16 v[134:137], a[164:167], v[42:45], v[134:137]// 000000007C90: D3B50086 0E1A55A4
	ds_read_b128 a[88:91], v21 offset:4096                     // 000000007C98: DBFE1000 58000015
	ds_read_b128 a[92:95], v21 offset:5120                     // 000000007CA0: DBFE1400 5C000015
	v_mfma_f32_16x16x32_bf16 v[138:141], a[168:171], v[42:45], v[138:141]// 000000007CA8: D3B5008A 0E2A55A8
	ds_read_b64_tr_b16 a[204:205], v11 offset:15360            // 000000007CB0: DBC63C00 CC00000B
	ds_read_b64_tr_b16 a[206:207], v11 offset:15616            // 000000007CB8: DBC63D00 CE00000B
	v_mfma_f32_16x16x32_bf16 v[142:145], a[172:175], v[42:45], v[142:145]// 000000007CC0: D3B5008E 0E3A55AC
	ds_read_b128 a[96:99], v21 offset:6144                     // 000000007CC8: DBFE1800 60000015
	ds_read_b128 a[100:103], v21 offset:7168                   // 000000007CD0: DBFE1C00 64000015
	v_mfma_f32_16x16x32_bf16 v[146:149], a[176:179], v[42:45], v[146:149]// 000000007CD8: D3B50092 0E4A55B0
	v_max3_f32 v29, v28, v29, v29                              // 000000007CE0: D1D3001D 04763B1C
	v_max3_f32 v29, v30, v31, v29                              // 000000007CE8: D1D3001D 04763F1E
	v_mfma_f32_16x16x32_bf16 v[150:153], a[180:183], v[42:45], v[150:153]// 000000007CF0: D3B50096 0E5A55B4
	ds_read_b128 a[104:107], v21 offset:8192                   // 000000007CF8: DBFE2000 68000015
	ds_read_b128 a[108:111], v21 offset:9216                   // 000000007D00: DBFE2400 6C000015
	v_mfma_f32_16x16x32_bf16 v[154:157], a[184:187], v[42:45], v[154:157]// 000000007D08: D3B5009A 0E6A55B8
	v_mov_b32_e32 v28, 0xff800000                              // 000000007D10: 7E3802FF FF800000
	v_cmp_eq_u32_e64 s[36:37], v28, v2                         // 000000007D18: D0CA0024 0002051C
	v_mfma_f32_16x16x32_bf16 v[158:161], a[188:191], v[42:45], v[158:161]// 000000007D20: D3B5009E 0E7A55BC
	ds_read_b128 a[112:115], v21 offset:10240                  // 000000007D28: DBFE2800 70000015
	ds_read_b128 a[116:119], v21 offset:11264                  // 000000007D30: DBFE2C00 74000015
	v_mfma_f32_16x16x32_bf16 v[162:165], a[192:195], v[42:45], v[162:165]// 000000007D38: D3B500A2 0E8A55C0
	v_max_f32_e32 v29, v29, v2                                 // 000000007D40: 163A051D
	v_sub_f32_e32 v16, v2, v29                                 // 000000007D44: 04203B02
	v_mfma_f32_16x16x32_bf16 v[166:169], a[196:199], v[42:45], v[166:169]// 000000007D48: D3B500A6 0E9A55C4
	ds_read_b128 a[120:123], v21 offset:12288                  // 000000007D50: DBFE3000 78000015
	ds_read_b128 a[124:127], v21 offset:13312                  // 000000007D58: DBFE3400 7C000015
	v_mfma_f32_16x16x32_bf16 v[170:173], a[200:203], v[42:45], v[170:173]// 000000007D60: D3B500AA 0EAA55C8
	v_cndmask_b32_e64 v16, v16, 0, s[36:37]                    // 000000007D68: D1000010 00910110
	v_mov_b32_e32 v2, v29                                      // 000000007D70: 7E04031D
	v_mfma_f32_16x16x32_bf16 v[174:177], a[204:207], v[42:45], v[174:177]// 000000007D74: D3B500AE 0EBA55CC
	ds_read_b128 a[128:131], v21 offset:14336                  // 000000007D7C: DBFE3800 80000015
	ds_read_b128 a[132:135], v21 offset:15360                  // 000000007D84: DBFE3C00 84000015
	ds_read_b128 a[136:139], v21 offset:16384                  // 000000007D8C: DBFE4000 88000015
	ds_read_b128 a[140:143], v21 offset:17408                  // 000000007D94: DBFE4400 8C000015
	s_waitcnt lgkmcnt(0)                                       // 000000007D9C: BF8CC07F
	v_mfma_f32_16x16x32_bf16 v[42:45], a[72:75], a[0:3], 0     // 000000007DA0: D3B5002A 1A020148
	buffer_load_dword v23, v26, s[24:27], 0 offen              // 000000007DA8: E0501000 8006171A
	v_mul_f32_e32 v29, s5, v29                                 // 000000007DB0: 0A3A3A05
	s_mov_b32 s56, 0xb000                                      // 000000007DB4: BEB800FF 0000B000
	s_mul_i32 s57, s7, 0x2400                                  // 000000007DBC: 9239FF07 00002400
	s_add_u32 m0, s56, s57                                     // 000000007DC4: 807C3938
	buffer_load_dwordx4 v32, s[20:23], 0 offen lds             // 000000007DC8: E05D1000 80050020
	s_add_i32 m0, m0, 0x3c0                                    // 000000007DD0: 817CFF7C 000003C0
	v_mfma_f32_16x16x32_bf16 v[42:45], a[76:79], a[4:7], v[42:45]// 000000007DD8: D3B5002A 1CAA094C
	buffer_load_dwordx4 v32, s[20:23], 0 offen offset:64 lds   // 000000007DE0: E05D1040 80050020
	s_add_i32 m0, m0, 0x3c0                                    // 000000007DE8: 817CFF7C 000003C0
	v_mfma_f32_16x16x32_bf16 v[42:45], a[80:83], a[8:11], v[42:45]// 000000007DF0: D3B5002A 1CAA1150
	v_mul_f32_e32 v16, s5, v16                                 // 000000007DF8: 0A202005
	v_exp_f32_e32 v16, v16                                     // 000000007DFC: 7E204110
	v_mfma_f32_16x16x32_bf16 v[42:45], a[84:87], a[12:15], v[42:45]// 000000007E00: D3B5002A 1CAA1954
	v_add_u32_e32 v26, s73, v26                                // 000000007E08: 68343449
	ds_read_b128 a[72:75], v21 offset:18432                    // 000000007E0C: DBFE4800 48000015
	ds_read_b128 a[76:79], v21 offset:19456                    // 000000007E14: DBFE4C00 4C000015
	v_fma_f32 v34, v34, s5, -v29                               // 000000007E1C: D1CB0022 84740B22
	v_mfma_f32_16x16x32_bf16 v[42:45], a[88:91], a[16:19], v[42:45]// 000000007E24: D3B5002A 1CAA2158
	ds_read_b128 a[80:83], v21 offset:20480                    // 000000007E2C: DBFE5000 50000015
	ds_read_b128 a[84:87], v21 offset:21504                    // 000000007E34: DBFE5400 54000015
	v_fma_f32 v35, v35, s5, -v29                               // 000000007E3C: D1CB0023 84740B23
	v_mfma_f32_16x16x32_bf16 v[42:45], a[92:95], a[20:23], v[42:45]// 000000007E44: D3B5002A 1CAA295C
	buffer_load_dwordx4 v32, s[20:23], 0 offen offset:128 lds  // 000000007E4C: E05D1080 80050020
	s_add_i32 m0, m0, 0x3c0                                    // 000000007E54: 817CFF7C 000003C0
	v_mfma_f32_16x16x32_bf16 v[42:45], a[96:99], a[24:27], v[42:45]// 000000007E5C: D3B5002A 1CAA3160
	v_fma_f32 v36, v36, s5, -v29                               // 000000007E64: D1CB0024 84740B24
	v_fma_f32 v37, v37, s5, -v29                               // 000000007E6C: D1CB0025 84740B25
	v_mfma_f32_16x16x32_bf16 v[42:45], a[100:103], a[28:31], v[42:45]// 000000007E74: D3B5002A 1CAA3964
	ds_read_b128 a[88:91], v21 offset:22528                    // 000000007E7C: DBFE5800 58000015
	ds_read_b128 a[92:95], v21 offset:23552                    // 000000007E84: DBFE5C00 5C000015
	v_fma_f32 v38, v38, s5, -v29                               // 000000007E8C: D1CB0026 84740B26
	v_mfma_f32_16x16x32_bf16 v[42:45], a[104:107], a[32:35], v[42:45]// 000000007E94: D3B5002A 1CAA4168
	ds_read_b128 a[96:99], v21 offset:24576                    // 000000007E9C: DBFE6000 60000015
	ds_read_b128 a[100:103], v21 offset:25600                  // 000000007EA4: DBFE6400 64000015
	v_fma_f32 v39, v39, s5, -v29                               // 000000007EAC: D1CB0027 84740B27
	v_mfma_f32_16x16x32_bf16 v[42:45], a[108:111], a[36:39], v[42:45]// 000000007EB4: D3B5002A 1CAA496C
	buffer_load_dwordx4 v32, s[20:23], 0 offen offset:192 lds  // 000000007EBC: E05D10C0 80050020
	s_add_i32 m0, m0, 0x3c0                                    // 000000007EC4: 817CFF7C 000003C0
	v_mfma_f32_16x16x32_bf16 v[42:45], a[112:115], a[40:43], v[42:45]// 000000007ECC: D3B5002A 1CAA5170
	v_fma_f32 v40, v40, s5, -v29                               // 000000007ED4: D1CB0028 84740B28
	v_fma_f32 v41, v41, s5, -v29                               // 000000007EDC: D1CB0029 84740B29
	v_mfma_f32_16x16x32_bf16 v[42:45], a[116:119], a[44:47], v[42:45]// 000000007EE4: D3B5002A 1CAA5974
	v_exp_f32_e32 v34, v34                                     // 000000007EEC: 7E444122
	v_mfma_f32_16x16x32_bf16 v[42:45], a[120:123], a[48:51], v[42:45]// 000000007EF0: D3B5002A 1CAA6178
	ds_read_b128 a[104:107], v21 offset:26624                  // 000000007EF8: DBFE6800 68000015
	ds_read_b128 a[108:111], v21 offset:27648                  // 000000007F00: DBFE6C00 6C000015
	v_exp_f32_e32 v35, v35                                     // 000000007F08: 7E464123
	v_mfma_f32_16x16x32_bf16 v[42:45], a[124:127], a[52:55], v[42:45]// 000000007F0C: D3B5002A 1CAA697C
	buffer_load_dwordx4 v32, s[20:23], 0 offen offset:256 lds  // 000000007F14: E05D1100 80050020
	s_add_i32 m0, m0, 0x3c0                                    // 000000007F1C: 817CFF7C 000003C0
	v_mfma_f32_16x16x32_bf16 v[42:45], a[128:131], a[56:59], v[42:45]// 000000007F24: D3B5002A 1CAA7180
	v_exp_f32_e32 v36, v36                                     // 000000007F2C: 7E484124
	v_mfma_f32_16x16x32_bf16 v[42:45], a[132:135], a[60:63], v[42:45]// 000000007F30: D3B5002A 1CAA7984
	ds_read_b128 a[112:115], v21 offset:28672                  // 000000007F38: DBFE7000 70000015
	ds_read_b128 a[116:119], v21 offset:29696                  // 000000007F40: DBFE7400 74000015
	v_exp_f32_e32 v37, v37                                     // 000000007F48: 7E4A4125
	v_mfma_f32_16x16x32_bf16 v[42:45], a[136:139], a[64:67], v[42:45]// 000000007F4C: D3B5002A 1CAA8188
	ds_read_b128 a[120:123], v21 offset:30720                  // 000000007F54: DBFE7800 78000015
	ds_read_b128 a[124:127], v21 offset:31744                  // 000000007F5C: DBFE7C00 7C000015
	v_exp_f32_e32 v38, v38                                     // 000000007F64: 7E4C4126
	v_mfma_f32_16x16x32_bf16 v[42:45], a[140:143], a[68:71], v[42:45]// 000000007F68: D3B5002A 1CAA898C
	ds_read_b128 a[128:131], v21 offset:32768                  // 000000007F70: DBFE8000 80000015
	ds_read_b128 a[132:135], v21 offset:33792                  // 000000007F78: DBFE8400 84000015
	v_exp_f32_e32 v39, v39                                     // 000000007F80: 7E4E4127
	ds_read_b128 a[136:139], v21 offset:34816                  // 000000007F84: DBFE8800 88000015
	ds_read_b128 a[140:143], v21 offset:35840                  // 000000007F8C: DBFE8C00 8C000015
	v_exp_f32_e32 v40, v40                                     // 000000007F94: 7E504128
	v_exp_f32_e32 v41, v41                                     // 000000007F98: 7E524129
	v_mul_f32_e32 v4, v16, v4                                  // 000000007F9C: 0A080910
	v_mov_b32_e32 v28, v34                                     // 000000007FA0: 7E380322
	v_add_f32_e32 v28, v35, v28                                // 000000007FA4: 02383923
	v_add_f32_e32 v28, v36, v28                                // 000000007FA8: 02383924
	v_add_f32_e32 v28, v37, v28                                // 000000007FAC: 02383925
	v_add_f32_e32 v28, v38, v28                                // 000000007FB0: 02383926
	v_add_f32_e32 v28, v39, v28                                // 000000007FB4: 02383927
	v_add_f32_e32 v28, v40, v28                                // 000000007FB8: 02383928
	v_add_f32_e32 v28, v41, v28                                // 000000007FBC: 02383929
	v_add_f32_e32 v4, v28, v4                                  // 000000007FC0: 0208091C
	v_cvt_pk_bf16_f32 v34, v34, v35                            // 000000007FC4: D2680022 00024722
	v_cvt_pk_bf16_f32 v35, v36, v37                            // 000000007FCC: D2680023 00024B24
	v_cvt_pk_bf16_f32 v36, v38, v39                            // 000000007FD4: D2680024 00024F26
	v_cvt_pk_bf16_f32 v37, v40, v41                            // 000000007FDC: D2680025 00025328
	s_nop 0                                                    // 000000007FE4: BF800000
	v_permlane32_swap_b32_e32 v34, v36                         // 000000007FE8: 7E44B524
	v_permlane32_swap_b32_e32 v35, v37                         // 000000007FEC: 7E46B525
	s_nop 0                                                    // 000000007FF0: BF800000
	v_permlane16_swap_b32_e32 v34, v36                         // 000000007FF4: 7E44B324
	v_permlane16_swap_b32_e32 v35, v37                         // 000000007FF8: 7E46B325
	s_waitcnt lgkmcnt(0)                                       // 000000007FFC: BF8CC07F
	v_mfma_f32_16x16x32_bf16 v[46:49], a[72:75], a[0:3], 0     // 000000008000: D3B5002E 1A020148
	v_mul_f32_e32 v50, v16, v50                                // 000000008008: 0A646510
	v_mul_f32_e32 v51, v16, v51                                // 00000000800C: 0A666710
	ds_read_b64_tr_b16 a[144:145], v12                         // 000000008010: DBC60000 9000000C
	ds_read_b64_tr_b16 a[146:147], v12 offset:256              // 000000008018: DBC60100 9200000C
	v_mfma_f32_16x16x32_bf16 v[46:49], a[76:79], a[4:7], v[46:49]// 000000008020: D3B5002E 1CBA094C
	buffer_load_dwordx4 v32, s[20:23], 0 offen offset:320 lds  // 000000008028: E05D1140 80050020
	s_add_i32 m0, m0, 0x3c0                                    // 000000008030: 817CFF7C 000003C0
	v_mul_f32_e32 v52, v16, v52                                // 000000008038: 0A686910
	v_mul_f32_e32 v53, v16, v53                                // 00000000803C: 0A6A6B10
	v_mfma_f32_16x16x32_bf16 v[46:49], a[80:83], a[8:11], v[46:49]// 000000008040: D3B5002E 1CBA1150
	v_mul_f32_e32 v54, v16, v54                                // 000000008048: 0A6C6D10
	v_mul_f32_e32 v55, v16, v55                                // 00000000804C: 0A6E6F10
	ds_read_b64_tr_b16 a[148:149], v13                         // 000000008050: DBC60000 9400000D
	ds_read_b64_tr_b16 a[150:151], v13 offset:256              // 000000008058: DBC60100 9600000D
	v_mfma_f32_16x16x32_bf16 v[46:49], a[84:87], a[12:15], v[46:49]// 000000008060: D3B5002E 1CBA1954
	v_mul_f32_e32 v56, v16, v56                                // 000000008068: 0A707110
	v_mul_f32_e32 v57, v16, v57                                // 00000000806C: 0A727310
	ds_read_b64_tr_b16 a[152:153], v12 offset:1024             // 000000008070: DBC60400 9800000C
	ds_read_b64_tr_b16 a[154:155], v12 offset:1280             // 000000008078: DBC60500 9A00000C
	v_mfma_f32_16x16x32_bf16 v[46:49], a[88:91], a[16:19], v[46:49]// 000000008080: D3B5002E 1CBA2158
	v_mul_f32_e32 v58, v16, v58                                // 000000008088: 0A747510
	v_mul_f32_e32 v59, v16, v59                                // 00000000808C: 0A767710
	ds_read_b64_tr_b16 a[156:157], v13 offset:1024             // 000000008090: DBC60400 9C00000D
	ds_read_b64_tr_b16 a[158:159], v13 offset:1280             // 000000008098: DBC60500 9E00000D
	v_mfma_f32_16x16x32_bf16 v[46:49], a[92:95], a[20:23], v[46:49]// 0000000080A0: D3B5002E 1CBA295C
	v_mul_f32_e32 v60, v16, v60                                // 0000000080A8: 0A787910
	v_mul_f32_e32 v61, v16, v61                                // 0000000080AC: 0A7A7B10
	ds_read_b64_tr_b16 a[160:161], v12 offset:2048             // 0000000080B0: DBC60800 A000000C
	ds_read_b64_tr_b16 a[162:163], v12 offset:2304             // 0000000080B8: DBC60900 A200000C
	v_mfma_f32_16x16x32_bf16 v[46:49], a[96:99], a[24:27], v[46:49]// 0000000080C0: D3B5002E 1CBA3160
	v_mul_f32_e32 v62, v16, v62                                // 0000000080C8: 0A7C7D10
	v_mul_f32_e32 v63, v16, v63                                // 0000000080CC: 0A7E7F10
	ds_read_b64_tr_b16 a[164:165], v13 offset:2048             // 0000000080D0: DBC60800 A400000D
	ds_read_b64_tr_b16 a[166:167], v13 offset:2304             // 0000000080D8: DBC60900 A600000D
	v_mfma_f32_16x16x32_bf16 v[46:49], a[100:103], a[28:31], v[46:49]// 0000000080E0: D3B5002E 1CBA3964
	buffer_load_dwordx4 v32, s[20:23], 0 offen offset:384 lds  // 0000000080E8: E05D1180 80050020
	s_add_i32 m0, m0, 0x3c0                                    // 0000000080F0: 817CFF7C 000003C0
	v_mfma_f32_16x16x32_bf16 v[46:49], a[104:107], a[32:35], v[46:49]// 0000000080F8: D3B5002E 1CBA4168
	v_mul_f32_e32 v64, v16, v64                                // 000000008100: 0A808110
	v_mul_f32_e32 v65, v16, v65                                // 000000008104: 0A828310
	ds_read_b64_tr_b16 a[168:169], v12 offset:3072             // 000000008108: DBC60C00 A800000C
	ds_read_b64_tr_b16 a[170:171], v12 offset:3328             // 000000008110: DBC60D00 AA00000C
	v_mfma_f32_16x16x32_bf16 v[46:49], a[108:111], a[36:39], v[46:49]// 000000008118: D3B5002E 1CBA496C
	v_mul_f32_e32 v66, v16, v66                                // 000000008120: 0A848510
	v_mul_f32_e32 v67, v16, v67                                // 000000008124: 0A868710
	ds_read_b64_tr_b16 a[172:173], v13 offset:3072             // 000000008128: DBC60C00 AC00000D
	ds_read_b64_tr_b16 a[174:175], v13 offset:3328             // 000000008130: DBC60D00 AE00000D
	v_mfma_f32_16x16x32_bf16 v[46:49], a[112:115], a[40:43], v[46:49]// 000000008138: D3B5002E 1CBA5170
	v_mul_f32_e32 v68, v16, v68                                // 000000008140: 0A888910
	v_mul_f32_e32 v69, v16, v69                                // 000000008144: 0A8A8B10
	ds_read_b64_tr_b16 a[176:177], v12 offset:4096             // 000000008148: DBC61000 B000000C
	ds_read_b64_tr_b16 a[178:179], v12 offset:4352             // 000000008150: DBC61100 B200000C
	v_mfma_f32_16x16x32_bf16 v[46:49], a[116:119], a[44:47], v[46:49]// 000000008158: D3B5002E 1CBA5974
	buffer_load_dwordx4 v32, s[20:23], 0 offen offset:448 lds  // 000000008160: E05D11C0 80050020
	s_add_i32 m0, m0, 0x3c0                                    // 000000008168: 817CFF7C 000003C0
	v_mul_f32_e32 v70, v16, v70                                // 000000008170: 0A8C8D10
	v_mul_f32_e32 v71, v16, v71                                // 000000008174: 0A8E8F10
	v_mfma_f32_16x16x32_bf16 v[46:49], a[120:123], a[48:51], v[46:49]// 000000008178: D3B5002E 1CBA6178
	v_mul_f32_e32 v72, v16, v72                                // 000000008180: 0A909110
	v_mul_f32_e32 v73, v16, v73                                // 000000008184: 0A929310
	ds_read_b64_tr_b16 a[180:181], v13 offset:4096             // 000000008188: DBC61000 B400000D
	ds_read_b64_tr_b16 a[182:183], v13 offset:4352             // 000000008190: DBC61100 B600000D
	v_mfma_f32_16x16x32_bf16 v[46:49], a[124:127], a[52:55], v[46:49]// 000000008198: D3B5002E 1CBA697C
	v_mul_f32_e32 v74, v16, v74                                // 0000000081A0: 0A949510
	v_mul_f32_e32 v75, v16, v75                                // 0000000081A4: 0A969710
	ds_read_b64_tr_b16 a[184:185], v12 offset:5120             // 0000000081A8: DBC61400 B800000C
	ds_read_b64_tr_b16 a[186:187], v12 offset:5376             // 0000000081B0: DBC61500 BA00000C
	v_mfma_f32_16x16x32_bf16 v[46:49], a[128:131], a[56:59], v[46:49]// 0000000081B8: D3B5002E 1CBA7180
	v_mul_f32_e32 v76, v16, v76                                // 0000000081C0: 0A989910
	v_mul_f32_e32 v77, v16, v77                                // 0000000081C4: 0A9A9B10
	ds_read_b64_tr_b16 a[188:189], v13 offset:5120             // 0000000081C8: DBC61400 BC00000D
	ds_read_b64_tr_b16 a[190:191], v13 offset:5376             // 0000000081D0: DBC61500 BE00000D
	v_mfma_f32_16x16x32_bf16 v[46:49], a[132:135], a[60:63], v[46:49]// 0000000081D8: D3B5002E 1CBA7984
	buffer_load_dwordx4 v32, s[20:23], 0 offen offset:512 lds  // 0000000081E0: E05D1200 80050020
	s_add_i32 m0, m0, 0x3c0                                    // 0000000081E8: 817CFF7C 000003C0
	v_mfma_f32_16x16x32_bf16 v[46:49], a[136:139], a[64:67], v[46:49]// 0000000081F0: D3B5002E 1CBA8188
	v_mul_f32_e32 v78, v16, v78                                // 0000000081F8: 0A9C9D10
	v_mul_f32_e32 v79, v16, v79                                // 0000000081FC: 0A9E9F10
	ds_read_b64_tr_b16 a[192:193], v12 offset:6144             // 000000008200: DBC61800 C000000C
	ds_read_b64_tr_b16 a[194:195], v12 offset:6400             // 000000008208: DBC61900 C200000C
	ds_read_b64_tr_b16 a[196:197], v13 offset:6144             // 000000008210: DBC61800 C400000D
	ds_read_b64_tr_b16 a[198:199], v13 offset:6400             // 000000008218: DBC61900 C600000D
	ds_read_b64_tr_b16 a[200:201], v12 offset:7168             // 000000008220: DBC61C00 C800000C
	ds_read_b64_tr_b16 a[202:203], v12 offset:7424             // 000000008228: DBC61D00 CA00000C
	ds_read_b64_tr_b16 a[204:205], v13 offset:7168             // 000000008230: DBC61C00 CC00000D
	ds_read_b64_tr_b16 a[206:207], v13 offset:7424             // 000000008238: DBC61D00 CE00000D
	v_mov_b32_e32 v30, v16                                     // 000000008240: 7E3C0310
	v_mov_b32_e32 v31, v16                                     // 000000008244: 7E3E0310
	v_pk_mul_f32 v[80:81], v[30:31], v[80:81]                  // 000000008248: D3B14050 1802A11E
	v_pk_mul_f32 v[82:83], v[30:31], v[82:83]                  // 000000008250: D3B14052 1802A51E
	v_pk_mul_f32 v[84:85], v[30:31], v[84:85]                  // 000000008258: D3B14054 1802A91E
	v_pk_mul_f32 v[86:87], v[30:31], v[86:87]                  // 000000008260: D3B14056 1802AD1E
	v_pk_mul_f32 v[88:89], v[30:31], v[88:89]                  // 000000008268: D3B14058 1802B11E
	v_pk_mul_f32 v[90:91], v[30:31], v[90:91]                  // 000000008270: D3B1405A 1802B51E
	v_pk_mul_f32 v[92:93], v[30:31], v[92:93]                  // 000000008278: D3B1405C 1802B91E
	v_pk_mul_f32 v[94:95], v[30:31], v[94:95]                  // 000000008280: D3B1405E 1802BD1E
	v_pk_mul_f32 v[96:97], v[30:31], v[96:97]                  // 000000008288: D3B14060 1802C11E
	v_pk_mul_f32 v[98:99], v[30:31], v[98:99]                  // 000000008290: D3B14062 1802C51E
	v_pk_mul_f32 v[100:101], v[30:31], v[100:101]              // 000000008298: D3B14064 1802C91E
	v_pk_mul_f32 v[102:103], v[30:31], v[102:103]              // 0000000082A0: D3B14066 1802CD1E
	v_pk_mul_f32 v[104:105], v[30:31], v[104:105]              // 0000000082A8: D3B14068 1802D11E
	v_pk_mul_f32 v[106:107], v[30:31], v[106:107]              // 0000000082B0: D3B1406A 1802D51E
	v_pk_mul_f32 v[108:109], v[30:31], v[108:109]              // 0000000082B8: D3B1406C 1802D91E
	v_pk_mul_f32 v[110:111], v[30:31], v[110:111]              // 0000000082C0: D3B1406E 1802DD1E
	v_pk_mul_f32 v[112:113], v[30:31], v[112:113]              // 0000000082C8: D3B14070 1802E11E
	v_pk_mul_f32 v[114:115], v[30:31], v[114:115]              // 0000000082D0: D3B14072 1802E51E
	v_pk_mul_f32 v[116:117], v[30:31], v[116:117]              // 0000000082D8: D3B14074 1802E91E
	v_pk_mul_f32 v[118:119], v[30:31], v[118:119]              // 0000000082E0: D3B14076 1802ED1E
	v_pk_mul_f32 v[120:121], v[30:31], v[120:121]              // 0000000082E8: D3B14078 1802F11E
	v_pk_mul_f32 v[122:123], v[30:31], v[122:123]              // 0000000082F0: D3B1407A 1802F51E
	v_pk_mul_f32 v[124:125], v[30:31], v[124:125]              // 0000000082F8: D3B1407C 1802F91E
	v_pk_mul_f32 v[126:127], v[30:31], v[126:127]              // 000000008300: D3B1407E 1802FD1E
	v_pk_mul_f32 v[128:129], v[30:31], v[128:129]              // 000000008308: D3B14080 1803011E
	v_pk_mul_f32 v[130:131], v[30:31], v[130:131]              // 000000008310: D3B14082 1803051E
	v_pk_mul_f32 v[132:133], v[30:31], v[132:133]              // 000000008318: D3B14084 1803091E
	v_pk_mul_f32 v[134:135], v[30:31], v[134:135]              // 000000008320: D3B14086 18030D1E
	v_pk_mul_f32 v[136:137], v[30:31], v[136:137]              // 000000008328: D3B14088 1803111E
	v_pk_mul_f32 v[138:139], v[30:31], v[138:139]              // 000000008330: D3B1408A 1803151E
	v_pk_mul_f32 v[140:141], v[30:31], v[140:141]              // 000000008338: D3B1408C 1803191E
	v_pk_mul_f32 v[142:143], v[30:31], v[142:143]              // 000000008340: D3B1408E 18031D1E
	v_pk_mul_f32 v[144:145], v[30:31], v[144:145]              // 000000008348: D3B14090 1803211E
	v_pk_mul_f32 v[146:147], v[30:31], v[146:147]              // 000000008350: D3B14092 1803251E
	v_pk_mul_f32 v[148:149], v[30:31], v[148:149]              // 000000008358: D3B14094 1803291E
	v_pk_mul_f32 v[150:151], v[30:31], v[150:151]              // 000000008360: D3B14096 18032D1E
	v_pk_mul_f32 v[152:153], v[30:31], v[152:153]              // 000000008368: D3B14098 1803311E
	v_pk_mul_f32 v[154:155], v[30:31], v[154:155]              // 000000008370: D3B1409A 1803351E
	v_pk_mul_f32 v[156:157], v[30:31], v[156:157]              // 000000008378: D3B1409C 1803391E
	v_pk_mul_f32 v[158:159], v[30:31], v[158:159]              // 000000008380: D3B1409E 18033D1E
	v_pk_mul_f32 v[160:161], v[30:31], v[160:161]              // 000000008388: D3B140A0 1803411E
	v_pk_mul_f32 v[162:163], v[30:31], v[162:163]              // 000000008390: D3B140A2 1803451E
	v_pk_mul_f32 v[164:165], v[30:31], v[164:165]              // 000000008398: D3B140A4 1803491E
	v_pk_mul_f32 v[166:167], v[30:31], v[166:167]              // 0000000083A0: D3B140A6 18034D1E
	v_pk_mul_f32 v[168:169], v[30:31], v[168:169]              // 0000000083A8: D3B140A8 1803511E
	v_pk_mul_f32 v[170:171], v[30:31], v[170:171]              // 0000000083B0: D3B140AA 1803551E
	v_pk_mul_f32 v[172:173], v[30:31], v[172:173]              // 0000000083B8: D3B140AC 1803591E
	v_pk_mul_f32 v[174:175], v[30:31], v[174:175]              // 0000000083C0: D3B140AE 18035D1E
	v_pk_mul_f32 v[176:177], v[30:31], v[176:177]              // 0000000083C8: D3B140B0 1803611E
	v_mfma_f32_16x16x32_bf16 v[46:49], a[140:143], a[68:71], v[46:49]// 0000000083D0: D3B5002E 1CBA898C
	s_addk_i32 s70, 0x1                                        // 0000000083D8: B7460001
	s_cmp_lt_i32 s70, s71                                      // 0000000083DC: BF044746
	s_cbranch_scc0 label_3B18                                  // 0000000083E0: BF84F68D
	s_branch label_3B24                                        // 0000000083E4: BF82F68F

00000000000083e8 <label_60E8>:
	ds_read_b64_tr_b16 a[144:145], v12                         // 0000000083E8: DBC60000 9000000C
	ds_read_b64_tr_b16 a[146:147], v12 offset:256              // 0000000083F0: DBC60100 9200000C
	ds_read_b64_tr_b16 a[148:149], v13                         // 0000000083F8: DBC60000 9400000D
	ds_read_b64_tr_b16 a[150:151], v13 offset:256              // 000000008400: DBC60100 9600000D
	ds_read_b64_tr_b16 a[152:153], v12 offset:1024             // 000000008408: DBC60400 9800000C
	ds_read_b64_tr_b16 a[154:155], v12 offset:1280             // 000000008410: DBC60500 9A00000C
	ds_read_b64_tr_b16 a[156:157], v13 offset:1024             // 000000008418: DBC60400 9C00000D
	ds_read_b64_tr_b16 a[158:159], v13 offset:1280             // 000000008420: DBC60500 9E00000D
	ds_read_b64_tr_b16 a[160:161], v12 offset:2048             // 000000008428: DBC60800 A000000C
	ds_read_b64_tr_b16 a[162:163], v12 offset:2304             // 000000008430: DBC60900 A200000C
	ds_read_b64_tr_b16 a[164:165], v13 offset:2048             // 000000008438: DBC60800 A400000D
	ds_read_b64_tr_b16 a[166:167], v13 offset:2304             // 000000008440: DBC60900 A600000D
	ds_read_b64_tr_b16 a[168:169], v12 offset:3072             // 000000008448: DBC60C00 A800000C
	ds_read_b64_tr_b16 a[170:171], v12 offset:3328             // 000000008450: DBC60D00 AA00000C
	ds_read_b64_tr_b16 a[172:173], v13 offset:3072             // 000000008458: DBC60C00 AC00000D
	ds_read_b64_tr_b16 a[174:175], v13 offset:3328             // 000000008460: DBC60D00 AE00000D
	s_waitcnt lgkmcnt(0)                                       // 000000008468: BF8CC07F
	v_mfma_f32_16x16x32_bf16 v[50:53], a[144:147], v[34:37], v[50:53]// 00000000846C: D3B50032 0CCA4590
	ds_read_b64_tr_b16 a[176:177], v12 offset:4096             // 000000008474: DBC61000 B000000C
	ds_read_b64_tr_b16 a[178:179], v12 offset:4352             // 00000000847C: DBC61100 B200000C
	ds_read_b64_tr_b16 a[180:181], v13 offset:4096             // 000000008484: DBC61000 B400000D
	ds_read_b64_tr_b16 a[182:183], v13 offset:4352             // 00000000848C: DBC61100 B600000D
	v_mfma_f32_16x16x32_bf16 v[54:57], a[148:151], v[34:37], v[54:57]// 000000008494: D3B50036 0CDA4594
	v_mfma_f32_16x16x32_bf16 v[58:61], a[152:155], v[34:37], v[58:61]// 00000000849C: D3B5003A 0CEA4598
	ds_read_b64_tr_b16 a[184:185], v12 offset:5120             // 0000000084A4: DBC61400 B800000C
	ds_read_b64_tr_b16 a[186:187], v12 offset:5376             // 0000000084AC: DBC61500 BA00000C
	ds_read_b64_tr_b16 a[188:189], v13 offset:5120             // 0000000084B4: DBC61400 BC00000D
	ds_read_b64_tr_b16 a[190:191], v13 offset:5376             // 0000000084BC: DBC61500 BE00000D
	v_mfma_f32_16x16x32_bf16 v[62:65], a[156:159], v[34:37], v[62:65]// 0000000084C4: D3B5003E 0CFA459C
	v_mfma_f32_16x16x32_bf16 v[66:69], a[160:163], v[34:37], v[66:69]// 0000000084CC: D3B50042 0D0A45A0
	ds_read_b64_tr_b16 a[192:193], v12 offset:6144             // 0000000084D4: DBC61800 C000000C
	ds_read_b64_tr_b16 a[194:195], v12 offset:6400             // 0000000084DC: DBC61900 C200000C
	ds_read_b64_tr_b16 a[196:197], v13 offset:6144             // 0000000084E4: DBC61800 C400000D
	ds_read_b64_tr_b16 a[198:199], v13 offset:6400             // 0000000084EC: DBC61900 C600000D
	v_mfma_f32_16x16x32_bf16 v[70:73], a[164:167], v[34:37], v[70:73]// 0000000084F4: D3B50046 0D1A45A4
	v_mfma_f32_16x16x32_bf16 v[74:77], a[168:171], v[34:37], v[74:77]// 0000000084FC: D3B5004A 0D2A45A8
	ds_read_b64_tr_b16 a[200:201], v12 offset:7168             // 000000008504: DBC61C00 C800000C
	ds_read_b64_tr_b16 a[202:203], v12 offset:7424             // 00000000850C: DBC61D00 CA00000C
	ds_read_b64_tr_b16 a[204:205], v13 offset:7168             // 000000008514: DBC61C00 CC00000D
	ds_read_b64_tr_b16 a[206:207], v13 offset:7424             // 00000000851C: DBC61D00 CE00000D
	v_mfma_f32_16x16x32_bf16 v[78:81], a[172:175], v[34:37], v[78:81]// 000000008524: D3B5004E 0D3A45AC
	v_mfma_f32_16x16x32_bf16 v[82:85], a[176:179], v[34:37], v[82:85]// 00000000852C: D3B50052 0D4A45B0
	ds_read_b64_tr_b16 a[144:145], v12 offset:8192             // 000000008534: DBC62000 9000000C
	ds_read_b64_tr_b16 a[146:147], v12 offset:8448             // 00000000853C: DBC62100 9200000C
	ds_read_b64_tr_b16 a[148:149], v13 offset:8192             // 000000008544: DBC62000 9400000D
	ds_read_b64_tr_b16 a[150:151], v13 offset:8448             // 00000000854C: DBC62100 9600000D
	v_mfma_f32_16x16x32_bf16 v[86:89], a[180:183], v[34:37], v[86:89]// 000000008554: D3B50056 0D5A45B4
	v_mfma_f32_16x16x32_bf16 v[90:93], a[184:187], v[34:37], v[90:93]// 00000000855C: D3B5005A 0D6A45B8
	ds_read_b64_tr_b16 a[152:153], v12 offset:9216             // 000000008564: DBC62400 9800000C
	ds_read_b64_tr_b16 a[154:155], v12 offset:9472             // 00000000856C: DBC62500 9A00000C
	ds_read_b64_tr_b16 a[156:157], v13 offset:9216             // 000000008574: DBC62400 9C00000D
	ds_read_b64_tr_b16 a[158:159], v13 offset:9472             // 00000000857C: DBC62500 9E00000D
	v_mfma_f32_16x16x32_bf16 v[94:97], a[188:191], v[34:37], v[94:97]// 000000008584: D3B5005E 0D7A45BC
	v_mfma_f32_16x16x32_bf16 v[98:101], a[192:195], v[34:37], v[98:101]// 00000000858C: D3B50062 0D8A45C0
	ds_read_b64_tr_b16 a[160:161], v12 offset:10240            // 000000008594: DBC62800 A000000C
	ds_read_b64_tr_b16 a[162:163], v12 offset:10496            // 00000000859C: DBC62900 A200000C
	ds_read_b64_tr_b16 a[164:165], v13 offset:10240            // 0000000085A4: DBC62800 A400000D
	ds_read_b64_tr_b16 a[166:167], v13 offset:10496            // 0000000085AC: DBC62900 A600000D
	v_mfma_f32_16x16x32_bf16 v[102:105], a[196:199], v[34:37], v[102:105]// 0000000085B4: D3B50066 0D9A45C4
	v_mfma_f32_16x16x32_bf16 v[106:109], a[200:203], v[34:37], v[106:109]// 0000000085BC: D3B5006A 0DAA45C8
	ds_read_b64_tr_b16 a[168:169], v12 offset:11264            // 0000000085C4: DBC62C00 A800000C
	ds_read_b64_tr_b16 a[170:171], v12 offset:11520            // 0000000085CC: DBC62D00 AA00000C
	ds_read_b64_tr_b16 a[172:173], v13 offset:11264            // 0000000085D4: DBC62C00 AC00000D
	ds_read_b64_tr_b16 a[174:175], v13 offset:11520            // 0000000085DC: DBC62D00 AE00000D
	v_mfma_f32_16x16x32_bf16 v[110:113], a[204:207], v[34:37], v[110:113]// 0000000085E4: D3B5006E 0DBA45CC
	v_mfma_f32_16x16x32_bf16 v[114:117], a[144:147], v[34:37], v[114:117]// 0000000085EC: D3B50072 0DCA4590
	ds_read_b64_tr_b16 a[176:177], v12 offset:12288            // 0000000085F4: DBC63000 B000000C
	ds_read_b64_tr_b16 a[178:179], v12 offset:12544            // 0000000085FC: DBC63100 B200000C
	ds_read_b64_tr_b16 a[180:181], v13 offset:12288            // 000000008604: DBC63000 B400000D
	ds_read_b64_tr_b16 a[182:183], v13 offset:12544            // 00000000860C: DBC63100 B600000D
	v_mfma_f32_16x16x32_bf16 v[118:121], a[148:151], v[34:37], v[118:121]// 000000008614: D3B50076 0DDA4594
	ds_read_b64_tr_b16 a[184:185], v12 offset:13312            // 00000000861C: DBC63400 B800000C
	ds_read_b64_tr_b16 a[186:187], v12 offset:13568            // 000000008624: DBC63500 BA00000C
	ds_read_b64_tr_b16 a[188:189], v13 offset:13312            // 00000000862C: DBC63400 BC00000D
	ds_read_b64_tr_b16 a[190:191], v13 offset:13568            // 000000008634: DBC63500 BE00000D
	v_mfma_f32_16x16x32_bf16 v[122:125], a[152:155], v[34:37], v[122:125]// 00000000863C: D3B5007A 0DEA4598
	ds_read_b64_tr_b16 a[192:193], v12 offset:14336            // 000000008644: DBC63800 C000000C
	ds_read_b64_tr_b16 a[194:195], v12 offset:14592            // 00000000864C: DBC63900 C200000C
	ds_read_b64_tr_b16 a[196:197], v13 offset:14336            // 000000008654: DBC63800 C400000D
	ds_read_b64_tr_b16 a[198:199], v13 offset:14592            // 00000000865C: DBC63900 C600000D
	v_mfma_f32_16x16x32_bf16 v[126:129], a[156:159], v[34:37], v[126:129]// 000000008664: D3B5007E 0DFA459C
	ds_read_b64_tr_b16 a[200:201], v12 offset:15360            // 00000000866C: DBC63C00 C800000C
	ds_read_b64_tr_b16 a[202:203], v12 offset:15616            // 000000008674: DBC63D00 CA00000C
	ds_read_b64_tr_b16 a[204:205], v13 offset:15360            // 00000000867C: DBC63C00 CC00000D
	ds_read_b64_tr_b16 a[206:207], v13 offset:15616            // 000000008684: DBC63D00 CE00000D
	v_mfma_f32_16x16x32_bf16 v[130:133], a[160:163], v[34:37], v[130:133]// 00000000868C: D3B50082 0E0A45A0
	v_mfma_f32_16x16x32_bf16 v[134:137], a[164:167], v[34:37], v[134:137]// 000000008694: D3B50086 0E1A45A4
	v_mfma_f32_16x16x32_bf16 v[138:141], a[168:171], v[34:37], v[138:141]// 00000000869C: D3B5008A 0E2A45A8
	v_mfma_f32_16x16x32_bf16 v[142:145], a[172:175], v[34:37], v[142:145]// 0000000086A4: D3B5008E 0E3A45AC
	v_mfma_f32_16x16x32_bf16 v[146:149], a[176:179], v[34:37], v[146:149]// 0000000086AC: D3B50092 0E4A45B0
	v_mfma_f32_16x16x32_bf16 v[150:153], a[180:183], v[34:37], v[150:153]// 0000000086B4: D3B50096 0E5A45B4
	v_mfma_f32_16x16x32_bf16 v[154:157], a[184:187], v[34:37], v[154:157]// 0000000086BC: D3B5009A 0E6A45B8
	v_mfma_f32_16x16x32_bf16 v[158:161], a[188:191], v[34:37], v[158:161]// 0000000086C4: D3B5009E 0E7A45BC
	v_mfma_f32_16x16x32_bf16 v[162:165], a[192:195], v[34:37], v[162:165]// 0000000086CC: D3B500A2 0E8A45C0
	v_mfma_f32_16x16x32_bf16 v[166:169], a[196:199], v[34:37], v[166:169]// 0000000086D4: D3B500A6 0E9A45C4
	v_mfma_f32_16x16x32_bf16 v[170:173], a[200:203], v[34:37], v[170:173]// 0000000086DC: D3B500AA 0EAA45C8
	v_mfma_f32_16x16x32_bf16 v[174:177], a[204:207], v[34:37], v[174:177]// 0000000086E4: D3B500AE 0EBA45CC
	s_branch label_8C94                                        // 0000000086EC: BF820A29

00000000000086f0 <label_63F0>:
	s_and_b32 s56, 3, s71                                      // 0000000086F0: 86384783
	s_cmp_eq_i32 s56, 0                                        // 0000000086F4: BF008038
	s_cbranch_scc1 label_7854                                  // 0000000086F8: BF850516
	s_cmp_eq_i32 s56, 1                                        // 0000000086FC: BF008138
	s_cbranch_scc1 label_8274                                  // 000000008700: BF85079C
	s_cmp_eq_i32 s56, 3                                        // 000000008704: BF008338
	s_cbranch_scc1 label_6E34                                  // 000000008708: BF85028A
	s_cmp_eq_i32 s56, 2                                        // 00000000870C: BF008238
	s_cbranch_scc1 label_6414                                  // 000000008710: BF850000

0000000000008714 <label_6414>:
	s_sub_u32 s56, s71, 2                                      // 000000008714: 80B88247
	s_mul_i32 s56, s84, s56                                    // 000000008718: 92383854
	s_add_u32 s83, s56, s83                                    // 00000000871C: 80535338
	s_cmp_le_i32 s83, s82                                      // 000000008720: BF055253
	s_cbranch_scc1 label_6530                                  // 000000008724: BF850042
	v_mov_b32_e32 v28, s82                                     // 000000008728: 7E380252
	s_cmp_eq_i32 s81, 1                                        // 00000000872C: BF008151
	s_cbranch_scc1 label_644C                                  // 000000008730: BF850006
	s_cmp_eq_i32 s81, 2                                        // 000000008734: BF008251
	s_cbranch_scc1 label_6444                                  // 000000008738: BF850002
	v_add_u32_e32 v28, s7, v28                                 // 00000000873C: 68383807
	s_branch label_644C                                        // 000000008740: BF820002

0000000000008744 <label_6444>:
	s_lshr_b32 s56, s7, 1                                      // 000000008744: 8F388107
	v_add_u32_e32 v28, s56, v28                                // 000000008748: 68383838

000000000000874c <label_644C>:
	s_sub_u32 s56, s83, 31                                     // 00000000874C: 80B89F53
	v_lshrrev_b32_e32 v18, 4, v0                               // 000000008750: 20240084
	v_mul_i32_i24_e32 v18, 4, v18                              // 000000008754: 0C242484
	v_add_u32_e32 v18, s56, v18                                // 000000008758: 68242438
	v_add_u32_e32 v19, 1, v18                                  // 00000000875C: 68262481
	v_add_u32_e32 v20, 2, v18                                  // 000000008760: 68282482
	v_add_u32_e32 v21, 3, v18                                  // 000000008764: 682A2483
	v_mov_b32_e32 v29, 0xff800000                              // 000000008768: 7E3A02FF FF800000
	v_cmp_le_u32_e64 s[36:37], v18, v28                        // 000000008770: D0CB0024 00023912
	v_add_u32_e32 v18, 16, v18                                 // 000000008778: 68242490
	s_nop 0                                                    // 00000000877C: BF800000
	v_cndmask_b32_e64 v42, v29, v42, s[36:37]                  // 000000008780: D100002A 0092551D
	v_cmp_le_u32_e64 s[36:37], v19, v28                        // 000000008788: D0CB0024 00023913
	v_add_u32_e32 v19, 16, v19                                 // 000000008790: 68262690
	s_nop 0                                                    // 000000008794: BF800000
	v_cndmask_b32_e64 v43, v29, v43, s[36:37]                  // 000000008798: D100002B 0092571D
	v_cmp_le_u32_e64 s[36:37], v20, v28                        // 0000000087A0: D0CB0024 00023914
	v_add_u32_e32 v20, 16, v20                                 // 0000000087A8: 68282890
	s_nop 0                                                    // 0000000087AC: BF800000
	v_cndmask_b32_e64 v44, v29, v44, s[36:37]                  // 0000000087B0: D100002C 0092591D
	v_cmp_le_u32_e64 s[36:37], v21, v28                        // 0000000087B8: D0CB0024 00023915
	v_add_u32_e32 v21, 16, v21                                 // 0000000087C0: 682A2A90
	s_nop 0                                                    // 0000000087C4: BF800000
	v_cndmask_b32_e64 v45, v29, v45, s[36:37]                  // 0000000087C8: D100002D 00925B1D
	v_cmp_le_u32_e64 s[36:37], v18, v28                        // 0000000087D0: D0CB0024 00023912
	v_add_u32_e32 v18, 16, v18                                 // 0000000087D8: 68242490
	s_nop 0                                                    // 0000000087DC: BF800000
	v_cndmask_b32_e64 v46, v29, v46, s[36:37]                  // 0000000087E0: D100002E 00925D1D
	v_cmp_le_u32_e64 s[36:37], v19, v28                        // 0000000087E8: D0CB0024 00023913
	v_add_u32_e32 v19, 16, v19                                 // 0000000087F0: 68262690
	s_nop 0                                                    // 0000000087F4: BF800000
	v_cndmask_b32_e64 v47, v29, v47, s[36:37]                  // 0000000087F8: D100002F 00925F1D
	v_cmp_le_u32_e64 s[36:37], v20, v28                        // 000000008800: D0CB0024 00023914
	v_add_u32_e32 v20, 16, v20                                 // 000000008808: 68282890
	s_nop 0                                                    // 00000000880C: BF800000
	v_cndmask_b32_e64 v48, v29, v48, s[36:37]                  // 000000008810: D1000030 0092611D
	v_cmp_le_u32_e64 s[36:37], v21, v28                        // 000000008818: D0CB0024 00023915
	v_add_u32_e32 v21, 16, v21                                 // 000000008820: 682A2A90
	s_nop 0                                                    // 000000008824: BF800000
	v_cndmask_b32_e64 v49, v29, v49, s[36:37]                  // 000000008828: D1000031 0092631D

0000000000008830 <label_6530>:
	s_add_u32 s83, s84, s83                                    // 000000008830: 80535354
	s_nop 2                                                    // 000000008834: BF800002
	v_mov_b32_e32 v29, v42                                     // 000000008838: 7E3A032A
	v_max3_f32 v29, v42, v43, v29                              // 00000000883C: D1D3001D 0476572A
	v_max3_f32 v29, v44, v45, v29                              // 000000008844: D1D3001D 04765B2C
	v_max3_f32 v29, v46, v47, v29                              // 00000000884C: D1D3001D 04765F2E
	v_max3_f32 v29, v48, v49, v29                              // 000000008854: D1D3001D 04766330
	v_mov_b32_e32 v28, v29                                     // 00000000885C: 7E38031D
	v_mov_b32_e32 v29, v29                                     // 000000008860: 7E3A031D
	s_nop 1                                                    // 000000008864: BF800001
	v_permlane16_swap_b32_e32 v28, v29                         // 000000008868: 7E38B31D
	v_mov_b32_e32 v31, v28                                     // 00000000886C: 7E3E031C
	v_mov_b32_e32 v30, v29                                     // 000000008870: 7E3C031D
	s_nop 1                                                    // 000000008874: BF800001
	v_permlane32_swap_b32_e32 v28, v29                         // 000000008878: 7E38B51D
	v_permlane32_swap_b32_e32 v30, v31                         // 00000000887C: 7E3CB51F
	v_max3_f32 v29, v28, v29, v29                              // 000000008880: D1D3001D 04763B1C
	v_max3_f32 v29, v30, v31, v29                              // 000000008888: D1D3001D 04763F1E
	v_mov_b32_e32 v28, 0xff800000                              // 000000008890: 7E3802FF FF800000
	v_cmp_eq_u32_e64 s[36:37], v28, v2                         // 000000008898: D0CA0024 0002051C
	v_max_f32_e32 v29, v29, v2                                 // 0000000088A0: 163A051D
	v_sub_f32_e32 v16, v2, v29                                 // 0000000088A4: 04203B02
	v_cndmask_b32_e64 v16, v16, 0, s[36:37]                    // 0000000088A8: D1000010 00910110
	v_mov_b32_e32 v2, v29                                      // 0000000088B0: 7E04031D
	v_mul_f32_e32 v29, s5, v29                                 // 0000000088B4: 0A3A3A05
	v_mul_f32_e32 v16, s5, v16                                 // 0000000088B8: 0A202005
	v_exp_f32_e32 v16, v16                                     // 0000000088BC: 7E204110
	v_fma_f32 v42, v42, s5, -v29                               // 0000000088C0: D1CB002A 84740B2A
	v_fma_f32 v43, v43, s5, -v29                               // 0000000088C8: D1CB002B 84740B2B
	v_fma_f32 v44, v44, s5, -v29                               // 0000000088D0: D1CB002C 84740B2C
	v_fma_f32 v45, v45, s5, -v29                               // 0000000088D8: D1CB002D 84740B2D
	v_fma_f32 v46, v46, s5, -v29                               // 0000000088E0: D1CB002E 84740B2E
	v_fma_f32 v47, v47, s5, -v29                               // 0000000088E8: D1CB002F 84740B2F
	v_fma_f32 v48, v48, s5, -v29                               // 0000000088F0: D1CB0030 84740B30
	v_fma_f32 v49, v49, s5, -v29                               // 0000000088F8: D1CB0031 84740B31
	v_exp_f32_e32 v42, v42                                     // 000000008900: 7E54412A
	v_exp_f32_e32 v43, v43                                     // 000000008904: 7E56412B
	v_exp_f32_e32 v44, v44                                     // 000000008908: 7E58412C
	v_exp_f32_e32 v45, v45                                     // 00000000890C: 7E5A412D
	v_exp_f32_e32 v46, v46                                     // 000000008910: 7E5C412E
	v_exp_f32_e32 v47, v47                                     // 000000008914: 7E5E412F
	v_exp_f32_e32 v48, v48                                     // 000000008918: 7E604130
	v_exp_f32_e32 v49, v49                                     // 00000000891C: 7E624131
	v_mul_f32_e32 v4, v16, v4                                  // 000000008920: 0A080910
	v_mov_b32_e32 v28, v42                                     // 000000008924: 7E38032A
	v_add_f32_e32 v28, v43, v28                                // 000000008928: 0238392B
	v_add_f32_e32 v28, v44, v28                                // 00000000892C: 0238392C
	v_add_f32_e32 v28, v45, v28                                // 000000008930: 0238392D
	v_add_f32_e32 v28, v46, v28                                // 000000008934: 0238392E
	v_add_f32_e32 v28, v47, v28                                // 000000008938: 0238392F
	v_add_f32_e32 v28, v48, v28                                // 00000000893C: 02383930
	v_add_f32_e32 v28, v49, v28                                // 000000008940: 02383931
	v_add_f32_e32 v4, v28, v4                                  // 000000008944: 0208091C
	v_cvt_pk_bf16_f32 v42, v42, v43                            // 000000008948: D268002A 0002572A
	v_cvt_pk_bf16_f32 v43, v44, v45                            // 000000008950: D268002B 00025B2C
	v_cvt_pk_bf16_f32 v44, v46, v47                            // 000000008958: D268002C 00025F2E
	v_cvt_pk_bf16_f32 v45, v48, v49                            // 000000008960: D268002D 00026330
	s_nop 0                                                    // 000000008968: BF800000
	v_permlane32_swap_b32_e32 v42, v44                         // 00000000896C: 7E54B52C
	v_permlane32_swap_b32_e32 v43, v45                         // 000000008970: 7E56B52D
	s_nop 0                                                    // 000000008974: BF800000
	v_permlane16_swap_b32_e32 v42, v44                         // 000000008978: 7E54B32C
	v_permlane16_swap_b32_e32 v43, v45                         // 00000000897C: 7E56B32D
	s_waitcnt lgkmcnt(4)                                       // 000000008980: BF8CC47F
	v_mfma_f32_16x16x32_bf16 v[50:53], a[144:147], v[34:37], v[50:53]// 000000008984: D3B50032 0CCA4590
	v_mfma_f32_16x16x32_bf16 v[54:57], a[148:151], v[34:37], v[54:57]// 00000000898C: D3B50036 0CDA4594
	v_mfma_f32_16x16x32_bf16 v[58:61], a[152:155], v[34:37], v[58:61]// 000000008994: D3B5003A 0CEA4598
	v_mfma_f32_16x16x32_bf16 v[62:65], a[156:159], v[34:37], v[62:65]// 00000000899C: D3B5003E 0CFA459C
	v_mfma_f32_16x16x32_bf16 v[66:69], a[160:163], v[34:37], v[66:69]// 0000000089A4: D3B50042 0D0A45A0
	v_mfma_f32_16x16x32_bf16 v[70:73], a[164:167], v[34:37], v[70:73]// 0000000089AC: D3B50046 0D1A45A4
	v_mfma_f32_16x16x32_bf16 v[74:77], a[168:171], v[34:37], v[74:77]// 0000000089B4: D3B5004A 0D2A45A8
	v_mfma_f32_16x16x32_bf16 v[78:81], a[172:175], v[34:37], v[78:81]// 0000000089BC: D3B5004E 0D3A45AC
	v_mfma_f32_16x16x32_bf16 v[82:85], a[176:179], v[34:37], v[82:85]// 0000000089C4: D3B50052 0D4A45B0
	v_mfma_f32_16x16x32_bf16 v[86:89], a[180:183], v[34:37], v[86:89]// 0000000089CC: D3B50056 0D5A45B4
	v_mfma_f32_16x16x32_bf16 v[90:93], a[184:187], v[34:37], v[90:93]// 0000000089D4: D3B5005A 0D6A45B8
	v_mfma_f32_16x16x32_bf16 v[94:97], a[188:191], v[34:37], v[94:97]// 0000000089DC: D3B5005E 0D7A45BC
	v_mfma_f32_16x16x32_bf16 v[98:101], a[192:195], v[34:37], v[98:101]// 0000000089E4: D3B50062 0D8A45C0
	v_mfma_f32_16x16x32_bf16 v[102:105], a[196:199], v[34:37], v[102:105]// 0000000089EC: D3B50066 0D9A45C4
	v_mfma_f32_16x16x32_bf16 v[106:109], a[200:203], v[34:37], v[106:109]// 0000000089F4: D3B5006A 0DAA45C8
	v_mfma_f32_16x16x32_bf16 v[110:113], a[204:207], v[34:37], v[110:113]// 0000000089FC: D3B5006E 0DBA45CC
	ds_read_b64_tr_b16 a[144:145], v12 offset:8192             // 000000008A04: DBC62000 9000000C
	ds_read_b64_tr_b16 a[146:147], v12 offset:8448             // 000000008A0C: DBC62100 9200000C
	ds_read_b64_tr_b16 a[148:149], v13 offset:8192             // 000000008A14: DBC62000 9400000D
	ds_read_b64_tr_b16 a[150:151], v13 offset:8448             // 000000008A1C: DBC62100 9600000D
	ds_read_b64_tr_b16 a[152:153], v12 offset:9216             // 000000008A24: DBC62400 9800000C
	ds_read_b64_tr_b16 a[154:155], v12 offset:9472             // 000000008A2C: DBC62500 9A00000C
	ds_read_b64_tr_b16 a[156:157], v13 offset:9216             // 000000008A34: DBC62400 9C00000D
	ds_read_b64_tr_b16 a[158:159], v13 offset:9472             // 000000008A3C: DBC62500 9E00000D
	ds_read_b64_tr_b16 a[160:161], v12 offset:10240            // 000000008A44: DBC62800 A000000C
	ds_read_b64_tr_b16 a[162:163], v12 offset:10496            // 000000008A4C: DBC62900 A200000C
	ds_read_b64_tr_b16 a[164:165], v13 offset:10240            // 000000008A54: DBC62800 A400000D
	ds_read_b64_tr_b16 a[166:167], v13 offset:10496            // 000000008A5C: DBC62900 A600000D
	ds_read_b64_tr_b16 a[168:169], v12 offset:11264            // 000000008A64: DBC62C00 A800000C
	ds_read_b64_tr_b16 a[170:171], v12 offset:11520            // 000000008A6C: DBC62D00 AA00000C
	ds_read_b64_tr_b16 a[172:173], v13 offset:11264            // 000000008A74: DBC62C00 AC00000D
	ds_read_b64_tr_b16 a[174:175], v13 offset:11520            // 000000008A7C: DBC62D00 AE00000D
	ds_read_b64_tr_b16 a[176:177], v12 offset:12288            // 000000008A84: DBC63000 B000000C
	ds_read_b64_tr_b16 a[178:179], v12 offset:12544            // 000000008A8C: DBC63100 B200000C
	ds_read_b64_tr_b16 a[180:181], v13 offset:12288            // 000000008A94: DBC63000 B400000D
	ds_read_b64_tr_b16 a[182:183], v13 offset:12544            // 000000008A9C: DBC63100 B600000D
	ds_read_b64_tr_b16 a[184:185], v12 offset:13312            // 000000008AA4: DBC63400 B800000C
	ds_read_b64_tr_b16 a[186:187], v12 offset:13568            // 000000008AAC: DBC63500 BA00000C
	ds_read_b64_tr_b16 a[188:189], v13 offset:13312            // 000000008AB4: DBC63400 BC00000D
	ds_read_b64_tr_b16 a[190:191], v13 offset:13568            // 000000008ABC: DBC63500 BE00000D
	ds_read_b64_tr_b16 a[192:193], v12 offset:14336            // 000000008AC4: DBC63800 C000000C
	ds_read_b64_tr_b16 a[194:195], v12 offset:14592            // 000000008ACC: DBC63900 C200000C
	ds_read_b64_tr_b16 a[196:197], v13 offset:14336            // 000000008AD4: DBC63800 C400000D
	ds_read_b64_tr_b16 a[198:199], v13 offset:14592            // 000000008ADC: DBC63900 C600000D
	ds_read_b64_tr_b16 a[200:201], v12 offset:15360            // 000000008AE4: DBC63C00 C800000C
	ds_read_b64_tr_b16 a[202:203], v12 offset:15616            // 000000008AEC: DBC63D00 CA00000C
	ds_read_b64_tr_b16 a[204:205], v13 offset:15360            // 000000008AF4: DBC63C00 CC00000D
	ds_read_b64_tr_b16 a[206:207], v13 offset:15616            // 000000008AFC: DBC63D00 CE00000D
	s_waitcnt lgkmcnt(0)                                       // 000000008B04: BF8CC07F
	v_mfma_f32_16x16x32_bf16 v[114:117], a[144:147], v[34:37], v[114:117]// 000000008B08: D3B50072 0DCA4590
	v_mfma_f32_16x16x32_bf16 v[118:121], a[148:151], v[34:37], v[118:121]// 000000008B10: D3B50076 0DDA4594
	v_mfma_f32_16x16x32_bf16 v[122:125], a[152:155], v[34:37], v[122:125]// 000000008B18: D3B5007A 0DEA4598
	v_mfma_f32_16x16x32_bf16 v[126:129], a[156:159], v[34:37], v[126:129]// 000000008B20: D3B5007E 0DFA459C
	v_mfma_f32_16x16x32_bf16 v[130:133], a[160:163], v[34:37], v[130:133]// 000000008B28: D3B50082 0E0A45A0
	v_mfma_f32_16x16x32_bf16 v[134:137], a[164:167], v[34:37], v[134:137]// 000000008B30: D3B50086 0E1A45A4
	v_mfma_f32_16x16x32_bf16 v[138:141], a[168:171], v[34:37], v[138:141]// 000000008B38: D3B5008A 0E2A45A8
	v_mfma_f32_16x16x32_bf16 v[142:145], a[172:175], v[34:37], v[142:145]// 000000008B40: D3B5008E 0E3A45AC
	v_mfma_f32_16x16x32_bf16 v[146:149], a[176:179], v[34:37], v[146:149]// 000000008B48: D3B50092 0E4A45B0
	v_mfma_f32_16x16x32_bf16 v[150:153], a[180:183], v[34:37], v[150:153]// 000000008B50: D3B50096 0E5A45B4
	v_mfma_f32_16x16x32_bf16 v[154:157], a[184:187], v[34:37], v[154:157]// 000000008B58: D3B5009A 0E6A45B8
	v_mfma_f32_16x16x32_bf16 v[158:161], a[188:191], v[34:37], v[158:161]// 000000008B60: D3B5009E 0E7A45BC
	v_mfma_f32_16x16x32_bf16 v[162:165], a[192:195], v[34:37], v[162:165]// 000000008B68: D3B500A2 0E8A45C0
	v_mfma_f32_16x16x32_bf16 v[166:169], a[196:199], v[34:37], v[166:169]// 000000008B70: D3B500A6 0E9A45C4
	v_mfma_f32_16x16x32_bf16 v[170:173], a[200:203], v[34:37], v[170:173]// 000000008B78: D3B500AA 0EAA45C8
	v_mfma_f32_16x16x32_bf16 v[174:177], a[204:207], v[34:37], v[174:177]// 000000008B80: D3B500AE 0EBA45CC
	ds_read_b64_tr_b16 a[144:145], v14                         // 000000008B88: DBC60000 9000000E
	ds_read_b64_tr_b16 a[146:147], v14 offset:256              // 000000008B90: DBC60100 9200000E
	ds_read_b64_tr_b16 a[148:149], v15                         // 000000008B98: DBC60000 9400000F
	ds_read_b64_tr_b16 a[150:151], v15 offset:256              // 000000008BA0: DBC60100 9600000F
	ds_read_b64_tr_b16 a[152:153], v14 offset:1024             // 000000008BA8: DBC60400 9800000E
	ds_read_b64_tr_b16 a[154:155], v14 offset:1280             // 000000008BB0: DBC60500 9A00000E
	ds_read_b64_tr_b16 a[156:157], v15 offset:1024             // 000000008BB8: DBC60400 9C00000F
	ds_read_b64_tr_b16 a[158:159], v15 offset:1280             // 000000008BC0: DBC60500 9E00000F
	ds_read_b64_tr_b16 a[160:161], v14 offset:2048             // 000000008BC8: DBC60800 A000000E
	ds_read_b64_tr_b16 a[162:163], v14 offset:2304             // 000000008BD0: DBC60900 A200000E
	ds_read_b64_tr_b16 a[164:165], v15 offset:2048             // 000000008BD8: DBC60800 A400000F
	ds_read_b64_tr_b16 a[166:167], v15 offset:2304             // 000000008BE0: DBC60900 A600000F
	ds_read_b64_tr_b16 a[168:169], v14 offset:3072             // 000000008BE8: DBC60C00 A800000E
	ds_read_b64_tr_b16 a[170:171], v14 offset:3328             // 000000008BF0: DBC60D00 AA00000E
	ds_read_b64_tr_b16 a[172:173], v15 offset:3072             // 000000008BF8: DBC60C00 AC00000F
	ds_read_b64_tr_b16 a[174:175], v15 offset:3328             // 000000008C00: DBC60D00 AE00000F
	ds_read_b64_tr_b16 a[176:177], v14 offset:4096             // 000000008C08: DBC61000 B000000E
	ds_read_b64_tr_b16 a[178:179], v14 offset:4352             // 000000008C10: DBC61100 B200000E
	ds_read_b64_tr_b16 a[180:181], v15 offset:4096             // 000000008C18: DBC61000 B400000F
	ds_read_b64_tr_b16 a[182:183], v15 offset:4352             // 000000008C20: DBC61100 B600000F
	ds_read_b64_tr_b16 a[184:185], v14 offset:5120             // 000000008C28: DBC61400 B800000E
	ds_read_b64_tr_b16 a[186:187], v14 offset:5376             // 000000008C30: DBC61500 BA00000E
	ds_read_b64_tr_b16 a[188:189], v15 offset:5120             // 000000008C38: DBC61400 BC00000F
	ds_read_b64_tr_b16 a[190:191], v15 offset:5376             // 000000008C40: DBC61500 BE00000F
	ds_read_b64_tr_b16 a[192:193], v14 offset:6144             // 000000008C48: DBC61800 C000000E
	ds_read_b64_tr_b16 a[194:195], v14 offset:6400             // 000000008C50: DBC61900 C200000E
	ds_read_b64_tr_b16 a[196:197], v15 offset:6144             // 000000008C58: DBC61800 C400000F
	ds_read_b64_tr_b16 a[198:199], v15 offset:6400             // 000000008C60: DBC61900 C600000F
	ds_read_b64_tr_b16 a[200:201], v14 offset:7168             // 000000008C68: DBC61C00 C800000E
	ds_read_b64_tr_b16 a[202:203], v14 offset:7424             // 000000008C70: DBC61D00 CA00000E
	ds_read_b64_tr_b16 a[204:205], v15 offset:7168             // 000000008C78: DBC61C00 CC00000F
	ds_read_b64_tr_b16 a[206:207], v15 offset:7424             // 000000008C80: DBC61D00 CE00000F
	v_mov_b32_e32 v30, v16                                     // 000000008C88: 7E3C0310
	v_mov_b32_e32 v31, v16                                     // 000000008C8C: 7E3E0310
	v_pk_mul_f32 v[50:51], v[30:31], v[50:51]                  // 000000008C90: D3B14032 1802651E
	v_pk_mul_f32 v[52:53], v[30:31], v[52:53]                  // 000000008C98: D3B14034 1802691E
	v_pk_mul_f32 v[54:55], v[30:31], v[54:55]                  // 000000008CA0: D3B14036 18026D1E
	v_pk_mul_f32 v[56:57], v[30:31], v[56:57]                  // 000000008CA8: D3B14038 1802711E
	v_pk_mul_f32 v[58:59], v[30:31], v[58:59]                  // 000000008CB0: D3B1403A 1802751E
	v_pk_mul_f32 v[60:61], v[30:31], v[60:61]                  // 000000008CB8: D3B1403C 1802791E
	v_pk_mul_f32 v[62:63], v[30:31], v[62:63]                  // 000000008CC0: D3B1403E 18027D1E
	v_pk_mul_f32 v[64:65], v[30:31], v[64:65]                  // 000000008CC8: D3B14040 1802811E
	v_pk_mul_f32 v[66:67], v[30:31], v[66:67]                  // 000000008CD0: D3B14042 1802851E
	v_pk_mul_f32 v[68:69], v[30:31], v[68:69]                  // 000000008CD8: D3B14044 1802891E
	v_pk_mul_f32 v[70:71], v[30:31], v[70:71]                  // 000000008CE0: D3B14046 18028D1E
	v_pk_mul_f32 v[72:73], v[30:31], v[72:73]                  // 000000008CE8: D3B14048 1802911E
	v_pk_mul_f32 v[74:75], v[30:31], v[74:75]                  // 000000008CF0: D3B1404A 1802951E
	v_pk_mul_f32 v[76:77], v[30:31], v[76:77]                  // 000000008CF8: D3B1404C 1802991E
	v_pk_mul_f32 v[78:79], v[30:31], v[78:79]                  // 000000008D00: D3B1404E 18029D1E
	v_pk_mul_f32 v[80:81], v[30:31], v[80:81]                  // 000000008D08: D3B14050 1802A11E
	v_pk_mul_f32 v[82:83], v[30:31], v[82:83]                  // 000000008D10: D3B14052 1802A51E
	v_pk_mul_f32 v[84:85], v[30:31], v[84:85]                  // 000000008D18: D3B14054 1802A91E
	v_pk_mul_f32 v[86:87], v[30:31], v[86:87]                  // 000000008D20: D3B14056 1802AD1E
	v_pk_mul_f32 v[88:89], v[30:31], v[88:89]                  // 000000008D28: D3B14058 1802B11E
	v_pk_mul_f32 v[90:91], v[30:31], v[90:91]                  // 000000008D30: D3B1405A 1802B51E
	v_pk_mul_f32 v[92:93], v[30:31], v[92:93]                  // 000000008D38: D3B1405C 1802B91E
	v_pk_mul_f32 v[94:95], v[30:31], v[94:95]                  // 000000008D40: D3B1405E 1802BD1E
	v_pk_mul_f32 v[96:97], v[30:31], v[96:97]                  // 000000008D48: D3B14060 1802C11E
	v_pk_mul_f32 v[98:99], v[30:31], v[98:99]                  // 000000008D50: D3B14062 1802C51E
	v_pk_mul_f32 v[100:101], v[30:31], v[100:101]              // 000000008D58: D3B14064 1802C91E
	v_pk_mul_f32 v[102:103], v[30:31], v[102:103]              // 000000008D60: D3B14066 1802CD1E
	v_pk_mul_f32 v[104:105], v[30:31], v[104:105]              // 000000008D68: D3B14068 1802D11E
	v_pk_mul_f32 v[106:107], v[30:31], v[106:107]              // 000000008D70: D3B1406A 1802D51E
	v_pk_mul_f32 v[108:109], v[30:31], v[108:109]              // 000000008D78: D3B1406C 1802D91E
	v_pk_mul_f32 v[110:111], v[30:31], v[110:111]              // 000000008D80: D3B1406E 1802DD1E
	v_pk_mul_f32 v[112:113], v[30:31], v[112:113]              // 000000008D88: D3B14070 1802E11E
	v_pk_mul_f32 v[114:115], v[30:31], v[114:115]              // 000000008D90: D3B14072 1802E51E
	v_pk_mul_f32 v[116:117], v[30:31], v[116:117]              // 000000008D98: D3B14074 1802E91E
	v_pk_mul_f32 v[118:119], v[30:31], v[118:119]              // 000000008DA0: D3B14076 1802ED1E
	v_pk_mul_f32 v[120:121], v[30:31], v[120:121]              // 000000008DA8: D3B14078 1802F11E
	v_pk_mul_f32 v[122:123], v[30:31], v[122:123]              // 000000008DB0: D3B1407A 1802F51E
	v_pk_mul_f32 v[124:125], v[30:31], v[124:125]              // 000000008DB8: D3B1407C 1802F91E
	v_pk_mul_f32 v[126:127], v[30:31], v[126:127]              // 000000008DC0: D3B1407E 1802FD1E
	v_pk_mul_f32 v[128:129], v[30:31], v[128:129]              // 000000008DC8: D3B14080 1803011E
	v_pk_mul_f32 v[130:131], v[30:31], v[130:131]              // 000000008DD0: D3B14082 1803051E
	v_pk_mul_f32 v[132:133], v[30:31], v[132:133]              // 000000008DD8: D3B14084 1803091E
	v_pk_mul_f32 v[134:135], v[30:31], v[134:135]              // 000000008DE0: D3B14086 18030D1E
	v_pk_mul_f32 v[136:137], v[30:31], v[136:137]              // 000000008DE8: D3B14088 1803111E
	v_pk_mul_f32 v[138:139], v[30:31], v[138:139]              // 000000008DF0: D3B1408A 1803151E
	v_pk_mul_f32 v[140:141], v[30:31], v[140:141]              // 000000008DF8: D3B1408C 1803191E
	v_pk_mul_f32 v[142:143], v[30:31], v[142:143]              // 000000008E00: D3B1408E 18031D1E
	v_pk_mul_f32 v[144:145], v[30:31], v[144:145]              // 000000008E08: D3B14090 1803211E
	v_pk_mul_f32 v[146:147], v[30:31], v[146:147]              // 000000008E10: D3B14092 1803251E
	v_pk_mul_f32 v[148:149], v[30:31], v[148:149]              // 000000008E18: D3B14094 1803291E
	v_pk_mul_f32 v[150:151], v[30:31], v[150:151]              // 000000008E20: D3B14096 18032D1E
	v_pk_mul_f32 v[152:153], v[30:31], v[152:153]              // 000000008E28: D3B14098 1803311E
	v_pk_mul_f32 v[154:155], v[30:31], v[154:155]              // 000000008E30: D3B1409A 1803351E
	v_pk_mul_f32 v[156:157], v[30:31], v[156:157]              // 000000008E38: D3B1409C 1803391E
	v_pk_mul_f32 v[158:159], v[30:31], v[158:159]              // 000000008E40: D3B1409E 18033D1E
	v_pk_mul_f32 v[160:161], v[30:31], v[160:161]              // 000000008E48: D3B140A0 1803411E
	v_pk_mul_f32 v[162:163], v[30:31], v[162:163]              // 000000008E50: D3B140A2 1803451E
	v_pk_mul_f32 v[164:165], v[30:31], v[164:165]              // 000000008E58: D3B140A4 1803491E
	v_pk_mul_f32 v[166:167], v[30:31], v[166:167]              // 000000008E60: D3B140A6 18034D1E
	v_pk_mul_f32 v[168:169], v[30:31], v[168:169]              // 000000008E68: D3B140A8 1803511E
	v_pk_mul_f32 v[170:171], v[30:31], v[170:171]              // 000000008E70: D3B140AA 1803551E
	v_pk_mul_f32 v[172:173], v[30:31], v[172:173]              // 000000008E78: D3B140AC 1803591E
	v_pk_mul_f32 v[174:175], v[30:31], v[174:175]              // 000000008E80: D3B140AE 18035D1E
	v_pk_mul_f32 v[176:177], v[30:31], v[176:177]              // 000000008E88: D3B140B0 1803611E
	s_waitcnt lgkmcnt(4)                                       // 000000008E90: BF8CC47F
	v_mfma_f32_16x16x32_bf16 v[50:53], a[144:147], v[42:45], v[50:53]// 000000008E94: D3B50032 0CCA5590
	v_mfma_f32_16x16x32_bf16 v[54:57], a[148:151], v[42:45], v[54:57]// 000000008E9C: D3B50036 0CDA5594
	v_mfma_f32_16x16x32_bf16 v[58:61], a[152:155], v[42:45], v[58:61]// 000000008EA4: D3B5003A 0CEA5598
	v_mfma_f32_16x16x32_bf16 v[62:65], a[156:159], v[42:45], v[62:65]// 000000008EAC: D3B5003E 0CFA559C
	v_mfma_f32_16x16x32_bf16 v[66:69], a[160:163], v[42:45], v[66:69]// 000000008EB4: D3B50042 0D0A55A0
	v_mfma_f32_16x16x32_bf16 v[70:73], a[164:167], v[42:45], v[70:73]// 000000008EBC: D3B50046 0D1A55A4
	v_mfma_f32_16x16x32_bf16 v[74:77], a[168:171], v[42:45], v[74:77]// 000000008EC4: D3B5004A 0D2A55A8
	v_mfma_f32_16x16x32_bf16 v[78:81], a[172:175], v[42:45], v[78:81]// 000000008ECC: D3B5004E 0D3A55AC
	v_mfma_f32_16x16x32_bf16 v[82:85], a[176:179], v[42:45], v[82:85]// 000000008ED4: D3B50052 0D4A55B0
	v_mfma_f32_16x16x32_bf16 v[86:89], a[180:183], v[42:45], v[86:89]// 000000008EDC: D3B50056 0D5A55B4
	v_mfma_f32_16x16x32_bf16 v[90:93], a[184:187], v[42:45], v[90:93]// 000000008EE4: D3B5005A 0D6A55B8
	v_mfma_f32_16x16x32_bf16 v[94:97], a[188:191], v[42:45], v[94:97]// 000000008EEC: D3B5005E 0D7A55BC
	v_mfma_f32_16x16x32_bf16 v[98:101], a[192:195], v[42:45], v[98:101]// 000000008EF4: D3B50062 0D8A55C0
	v_mfma_f32_16x16x32_bf16 v[102:105], a[196:199], v[42:45], v[102:105]// 000000008EFC: D3B50066 0D9A55C4
	v_mfma_f32_16x16x32_bf16 v[106:109], a[200:203], v[42:45], v[106:109]// 000000008F04: D3B5006A 0DAA55C8
	v_mfma_f32_16x16x32_bf16 v[110:113], a[204:207], v[42:45], v[110:113]// 000000008F0C: D3B5006E 0DBA55CC
	ds_read_b64_tr_b16 a[144:145], v14 offset:8192             // 000000008F14: DBC62000 9000000E
	ds_read_b64_tr_b16 a[146:147], v14 offset:8448             // 000000008F1C: DBC62100 9200000E
	ds_read_b64_tr_b16 a[148:149], v15 offset:8192             // 000000008F24: DBC62000 9400000F
	ds_read_b64_tr_b16 a[150:151], v15 offset:8448             // 000000008F2C: DBC62100 9600000F
	ds_read_b64_tr_b16 a[152:153], v14 offset:9216             // 000000008F34: DBC62400 9800000E
	ds_read_b64_tr_b16 a[154:155], v14 offset:9472             // 000000008F3C: DBC62500 9A00000E
	ds_read_b64_tr_b16 a[156:157], v15 offset:9216             // 000000008F44: DBC62400 9C00000F
	ds_read_b64_tr_b16 a[158:159], v15 offset:9472             // 000000008F4C: DBC62500 9E00000F
	ds_read_b64_tr_b16 a[160:161], v14 offset:10240            // 000000008F54: DBC62800 A000000E
	ds_read_b64_tr_b16 a[162:163], v14 offset:10496            // 000000008F5C: DBC62900 A200000E
	ds_read_b64_tr_b16 a[164:165], v15 offset:10240            // 000000008F64: DBC62800 A400000F
	ds_read_b64_tr_b16 a[166:167], v15 offset:10496            // 000000008F6C: DBC62900 A600000F
	ds_read_b64_tr_b16 a[168:169], v14 offset:11264            // 000000008F74: DBC62C00 A800000E
	ds_read_b64_tr_b16 a[170:171], v14 offset:11520            // 000000008F7C: DBC62D00 AA00000E
	ds_read_b64_tr_b16 a[172:173], v15 offset:11264            // 000000008F84: DBC62C00 AC00000F
	ds_read_b64_tr_b16 a[174:175], v15 offset:11520            // 000000008F8C: DBC62D00 AE00000F
	ds_read_b64_tr_b16 a[176:177], v14 offset:12288            // 000000008F94: DBC63000 B000000E
	ds_read_b64_tr_b16 a[178:179], v14 offset:12544            // 000000008F9C: DBC63100 B200000E
	ds_read_b64_tr_b16 a[180:181], v15 offset:12288            // 000000008FA4: DBC63000 B400000F
	ds_read_b64_tr_b16 a[182:183], v15 offset:12544            // 000000008FAC: DBC63100 B600000F
	ds_read_b64_tr_b16 a[184:185], v14 offset:13312            // 000000008FB4: DBC63400 B800000E
	ds_read_b64_tr_b16 a[186:187], v14 offset:13568            // 000000008FBC: DBC63500 BA00000E
	ds_read_b64_tr_b16 a[188:189], v15 offset:13312            // 000000008FC4: DBC63400 BC00000F
	ds_read_b64_tr_b16 a[190:191], v15 offset:13568            // 000000008FCC: DBC63500 BE00000F
	ds_read_b64_tr_b16 a[192:193], v14 offset:14336            // 000000008FD4: DBC63800 C000000E
	ds_read_b64_tr_b16 a[194:195], v14 offset:14592            // 000000008FDC: DBC63900 C200000E
	ds_read_b64_tr_b16 a[196:197], v15 offset:14336            // 000000008FE4: DBC63800 C400000F
	ds_read_b64_tr_b16 a[198:199], v15 offset:14592            // 000000008FEC: DBC63900 C600000F
	ds_read_b64_tr_b16 a[200:201], v14 offset:15360            // 000000008FF4: DBC63C00 C800000E
	ds_read_b64_tr_b16 a[202:203], v14 offset:15616            // 000000008FFC: DBC63D00 CA00000E
	ds_read_b64_tr_b16 a[204:205], v15 offset:15360            // 000000009004: DBC63C00 CC00000F
	ds_read_b64_tr_b16 a[206:207], v15 offset:15616            // 00000000900C: DBC63D00 CE00000F
	s_waitcnt vmcnt(0)                                         // 000000009014: BF8C0F70
	s_barrier                                                  // 000000009018: BF8A0000
	s_waitcnt lgkmcnt(0)                                       // 00000000901C: BF8CC07F
	v_mfma_f32_16x16x32_bf16 v[114:117], a[144:147], v[42:45], v[114:117]// 000000009020: D3B50072 0DCA5590
	ds_read_b128 a[72:75], v18                                 // 000000009028: DBFE0000 48000012
	ds_read_b128 a[76:79], v18 offset:1024                     // 000000009030: DBFE0400 4C000012
	v_mfma_f32_16x16x32_bf16 v[118:121], a[148:151], v[42:45], v[118:121]// 000000009038: D3B50076 0DDA5594
	ds_read_b128 a[80:83], v18 offset:2048                     // 000000009040: DBFE0800 50000012
	ds_read_b128 a[84:87], v18 offset:3072                     // 000000009048: DBFE0C00 54000012
	v_mfma_f32_16x16x32_bf16 v[122:125], a[152:155], v[42:45], v[122:125]// 000000009050: D3B5007A 0DEA5598
	ds_read_b128 a[88:91], v18 offset:4096                     // 000000009058: DBFE1000 58000012
	ds_read_b128 a[92:95], v18 offset:5120                     // 000000009060: DBFE1400 5C000012
	v_mfma_f32_16x16x32_bf16 v[126:129], a[156:159], v[42:45], v[126:129]// 000000009068: D3B5007E 0DFA559C
	ds_read_b128 a[96:99], v18 offset:6144                     // 000000009070: DBFE1800 60000012
	ds_read_b128 a[100:103], v18 offset:7168                   // 000000009078: DBFE1C00 64000012
	v_mfma_f32_16x16x32_bf16 v[130:133], a[160:163], v[42:45], v[130:133]// 000000009080: D3B50082 0E0A55A0
	ds_read_b128 a[104:107], v18 offset:8192                   // 000000009088: DBFE2000 68000012
	ds_read_b128 a[108:111], v18 offset:9216                   // 000000009090: DBFE2400 6C000012
	v_mfma_f32_16x16x32_bf16 v[134:137], a[164:167], v[42:45], v[134:137]// 000000009098: D3B50086 0E1A55A4
	ds_read_b128 a[112:115], v18 offset:10240                  // 0000000090A0: DBFE2800 70000012
	ds_read_b128 a[116:119], v18 offset:11264                  // 0000000090A8: DBFE2C00 74000012
	v_mfma_f32_16x16x32_bf16 v[138:141], a[168:171], v[42:45], v[138:141]// 0000000090B0: D3B5008A 0E2A55A8
	ds_read_b128 a[120:123], v18 offset:12288                  // 0000000090B8: DBFE3000 78000012
	ds_read_b128 a[124:127], v18 offset:13312                  // 0000000090C0: DBFE3400 7C000012
	v_mfma_f32_16x16x32_bf16 v[142:145], a[172:175], v[42:45], v[142:145]// 0000000090C8: D3B5008E 0E3A55AC
	ds_read_b128 a[128:131], v18 offset:14336                  // 0000000090D0: DBFE3800 80000012
	ds_read_b128 a[132:135], v18 offset:15360                  // 0000000090D8: DBFE3C00 84000012
	v_mfma_f32_16x16x32_bf16 v[146:149], a[176:179], v[42:45], v[146:149]// 0000000090E0: D3B50092 0E4A55B0
	ds_read_b128 a[136:139], v18 offset:16384                  // 0000000090E8: DBFE4000 88000012
	ds_read_b128 a[140:143], v18 offset:17408                  // 0000000090F0: DBFE4400 8C000012
	v_mfma_f32_16x16x32_bf16 v[150:153], a[180:183], v[42:45], v[150:153]// 0000000090F8: D3B50096 0E5A55B4
	v_mfma_f32_16x16x32_bf16 v[154:157], a[184:187], v[42:45], v[154:157]// 000000009100: D3B5009A 0E6A55B8
	v_mfma_f32_16x16x32_bf16 v[158:161], a[188:191], v[42:45], v[158:161]// 000000009108: D3B5009E 0E7A55BC
	v_mfma_f32_16x16x32_bf16 v[162:165], a[192:195], v[42:45], v[162:165]// 000000009110: D3B500A2 0E8A55C0
	v_mfma_f32_16x16x32_bf16 v[166:169], a[196:199], v[42:45], v[166:169]// 000000009118: D3B500A6 0E9A55C4
	v_mfma_f32_16x16x32_bf16 v[170:173], a[200:203], v[42:45], v[170:173]// 000000009120: D3B500AA 0EAA55C8
	v_mfma_f32_16x16x32_bf16 v[174:177], a[204:207], v[42:45], v[174:177]// 000000009128: D3B500AE 0EBA55CC
	s_branch label_8C94                                        // 000000009130: BF820798

0000000000009134 <label_6E34>:
	s_sub_u32 s56, s71, 2                                      // 000000009134: 80B88247
	s_mul_i32 s56, s84, s56                                    // 000000009138: 92383854
	s_add_u32 s83, s56, s83                                    // 00000000913C: 80535338
	s_cmp_le_i32 s83, s82                                      // 000000009140: BF055253
	s_cbranch_scc1 label_6F50                                  // 000000009144: BF850042
	v_mov_b32_e32 v28, s82                                     // 000000009148: 7E380252
	s_cmp_eq_i32 s81, 1                                        // 00000000914C: BF008151
	s_cbranch_scc1 label_6E6C                                  // 000000009150: BF850006
	s_cmp_eq_i32 s81, 2                                        // 000000009154: BF008251
	s_cbranch_scc1 label_6E64                                  // 000000009158: BF850002
	v_add_u32_e32 v28, s7, v28                                 // 00000000915C: 68383807
	s_branch label_6E6C                                        // 000000009160: BF820002

0000000000009164 <label_6E64>:
	s_lshr_b32 s56, s7, 1                                      // 000000009164: 8F388107
	v_add_u32_e32 v28, s56, v28                                // 000000009168: 68383838

000000000000916c <label_6E6C>:
	s_sub_u32 s56, s83, 31                                     // 00000000916C: 80B89F53
	v_lshrrev_b32_e32 v18, 4, v0                               // 000000009170: 20240084
	v_mul_i32_i24_e32 v18, 4, v18                              // 000000009174: 0C242484
	v_add_u32_e32 v18, s56, v18                                // 000000009178: 68242438
	v_add_u32_e32 v19, 1, v18                                  // 00000000917C: 68262481
	v_add_u32_e32 v20, 2, v18                                  // 000000009180: 68282482
	v_add_u32_e32 v21, 3, v18                                  // 000000009184: 682A2483
	v_mov_b32_e32 v29, 0xff800000                              // 000000009188: 7E3A02FF FF800000
	v_cmp_le_u32_e64 s[36:37], v18, v28                        // 000000009190: D0CB0024 00023912
	v_add_u32_e32 v18, 16, v18                                 // 000000009198: 68242490
	s_nop 0                                                    // 00000000919C: BF800000
	v_cndmask_b32_e64 v34, v29, v34, s[36:37]                  // 0000000091A0: D1000022 0092451D
	v_cmp_le_u32_e64 s[36:37], v19, v28                        // 0000000091A8: D0CB0024 00023913
	v_add_u32_e32 v19, 16, v19                                 // 0000000091B0: 68262690
	s_nop 0                                                    // 0000000091B4: BF800000
	v_cndmask_b32_e64 v35, v29, v35, s[36:37]                  // 0000000091B8: D1000023 0092471D
	v_cmp_le_u32_e64 s[36:37], v20, v28                        // 0000000091C0: D0CB0024 00023914
	v_add_u32_e32 v20, 16, v20                                 // 0000000091C8: 68282890
	s_nop 0                                                    // 0000000091CC: BF800000
	v_cndmask_b32_e64 v36, v29, v36, s[36:37]                  // 0000000091D0: D1000024 0092491D
	v_cmp_le_u32_e64 s[36:37], v21, v28                        // 0000000091D8: D0CB0024 00023915
	v_add_u32_e32 v21, 16, v21                                 // 0000000091E0: 682A2A90
	s_nop 0                                                    // 0000000091E4: BF800000
	v_cndmask_b32_e64 v37, v29, v37, s[36:37]                  // 0000000091E8: D1000025 00924B1D
	v_cmp_le_u32_e64 s[36:37], v18, v28                        // 0000000091F0: D0CB0024 00023912
	v_add_u32_e32 v18, 16, v18                                 // 0000000091F8: 68242490
	s_nop 0                                                    // 0000000091FC: BF800000
	v_cndmask_b32_e64 v38, v29, v38, s[36:37]                  // 000000009200: D1000026 00924D1D
	v_cmp_le_u32_e64 s[36:37], v19, v28                        // 000000009208: D0CB0024 00023913
	v_add_u32_e32 v19, 16, v19                                 // 000000009210: 68262690
	s_nop 0                                                    // 000000009214: BF800000
	v_cndmask_b32_e64 v39, v29, v39, s[36:37]                  // 000000009218: D1000027 00924F1D
	v_cmp_le_u32_e64 s[36:37], v20, v28                        // 000000009220: D0CB0024 00023914
	v_add_u32_e32 v20, 16, v20                                 // 000000009228: 68282890
	s_nop 0                                                    // 00000000922C: BF800000
	v_cndmask_b32_e64 v40, v29, v40, s[36:37]                  // 000000009230: D1000028 0092511D
	v_cmp_le_u32_e64 s[36:37], v21, v28                        // 000000009238: D0CB0024 00023915
	v_add_u32_e32 v21, 16, v21                                 // 000000009240: 682A2A90
	s_nop 0                                                    // 000000009244: BF800000
	v_cndmask_b32_e64 v41, v29, v41, s[36:37]                  // 000000009248: D1000029 0092531D

0000000000009250 <label_6F50>:
	s_add_u32 s83, s84, s83                                    // 000000009250: 80535354
	s_nop 2                                                    // 000000009254: BF800002
	v_mov_b32_e32 v29, v34                                     // 000000009258: 7E3A0322
	v_max3_f32 v29, v34, v35, v29                              // 00000000925C: D1D3001D 04764722
	v_max3_f32 v29, v36, v37, v29                              // 000000009264: D1D3001D 04764B24
	v_max3_f32 v29, v38, v39, v29                              // 00000000926C: D1D3001D 04764F26
	v_max3_f32 v29, v40, v41, v29                              // 000000009274: D1D3001D 04765328
	v_mov_b32_e32 v28, v29                                     // 00000000927C: 7E38031D
	v_mov_b32_e32 v29, v29                                     // 000000009280: 7E3A031D
	s_nop 1                                                    // 000000009284: BF800001
	v_permlane16_swap_b32_e32 v28, v29                         // 000000009288: 7E38B31D
	v_mov_b32_e32 v31, v28                                     // 00000000928C: 7E3E031C
	v_mov_b32_e32 v30, v29                                     // 000000009290: 7E3C031D
	s_nop 1                                                    // 000000009294: BF800001
	v_permlane32_swap_b32_e32 v28, v29                         // 000000009298: 7E38B51D
	v_permlane32_swap_b32_e32 v30, v31                         // 00000000929C: 7E3CB51F
	v_max3_f32 v29, v28, v29, v29                              // 0000000092A0: D1D3001D 04763B1C
	v_max3_f32 v29, v30, v31, v29                              // 0000000092A8: D1D3001D 04763F1E
	v_mov_b32_e32 v28, 0xff800000                              // 0000000092B0: 7E3802FF FF800000
	v_cmp_eq_u32_e64 s[36:37], v28, v2                         // 0000000092B8: D0CA0024 0002051C
	v_max_f32_e32 v29, v29, v2                                 // 0000000092C0: 163A051D
	v_sub_f32_e32 v16, v2, v29                                 // 0000000092C4: 04203B02
	v_cndmask_b32_e64 v16, v16, 0, s[36:37]                    // 0000000092C8: D1000010 00910110
	v_mov_b32_e32 v2, v29                                      // 0000000092D0: 7E04031D
	v_mul_f32_e32 v29, s5, v29                                 // 0000000092D4: 0A3A3A05
	v_mul_f32_e32 v16, s5, v16                                 // 0000000092D8: 0A202005
	v_exp_f32_e32 v16, v16                                     // 0000000092DC: 7E204110
	v_fma_f32 v34, v34, s5, -v29                               // 0000000092E0: D1CB0022 84740B22
	v_fma_f32 v35, v35, s5, -v29                               // 0000000092E8: D1CB0023 84740B23
	v_fma_f32 v36, v36, s5, -v29                               // 0000000092F0: D1CB0024 84740B24
	v_fma_f32 v37, v37, s5, -v29                               // 0000000092F8: D1CB0025 84740B25
	v_fma_f32 v38, v38, s5, -v29                               // 000000009300: D1CB0026 84740B26
	v_fma_f32 v39, v39, s5, -v29                               // 000000009308: D1CB0027 84740B27
	v_fma_f32 v40, v40, s5, -v29                               // 000000009310: D1CB0028 84740B28
	v_fma_f32 v41, v41, s5, -v29                               // 000000009318: D1CB0029 84740B29
	v_exp_f32_e32 v34, v34                                     // 000000009320: 7E444122
	v_exp_f32_e32 v35, v35                                     // 000000009324: 7E464123
	v_exp_f32_e32 v36, v36                                     // 000000009328: 7E484124
	v_exp_f32_e32 v37, v37                                     // 00000000932C: 7E4A4125
	v_exp_f32_e32 v38, v38                                     // 000000009330: 7E4C4126
	v_exp_f32_e32 v39, v39                                     // 000000009334: 7E4E4127
	v_exp_f32_e32 v40, v40                                     // 000000009338: 7E504128
	v_exp_f32_e32 v41, v41                                     // 00000000933C: 7E524129
	v_mul_f32_e32 v4, v16, v4                                  // 000000009340: 0A080910
	v_mov_b32_e32 v28, v34                                     // 000000009344: 7E380322
	v_add_f32_e32 v28, v35, v28                                // 000000009348: 02383923
	v_add_f32_e32 v28, v36, v28                                // 00000000934C: 02383924
	v_add_f32_e32 v28, v37, v28                                // 000000009350: 02383925
	v_add_f32_e32 v28, v38, v28                                // 000000009354: 02383926
	;; [unrolled: 1-line block ×3, first 2 shown]
	v_add_f32_e32 v28, v40, v28                                // 00000000935C: 02383928
	v_add_f32_e32 v28, v41, v28                                // 000000009360: 02383929
	v_add_f32_e32 v4, v28, v4                                  // 000000009364: 0208091C
	v_cvt_pk_bf16_f32 v34, v34, v35                            // 000000009368: D2680022 00024722
	v_cvt_pk_bf16_f32 v35, v36, v37                            // 000000009370: D2680023 00024B24
	v_cvt_pk_bf16_f32 v36, v38, v39                            // 000000009378: D2680024 00024F26
	v_cvt_pk_bf16_f32 v37, v40, v41                            // 000000009380: D2680025 00025328
	s_nop 0                                                    // 000000009388: BF800000
	v_permlane32_swap_b32_e32 v34, v36                         // 00000000938C: 7E44B524
	v_permlane32_swap_b32_e32 v35, v37                         // 000000009390: 7E46B525
	s_nop 0                                                    // 000000009394: BF800000
	v_permlane16_swap_b32_e32 v34, v36                         // 000000009398: 7E44B324
	v_permlane16_swap_b32_e32 v35, v37                         // 00000000939C: 7E46B325
	s_waitcnt lgkmcnt(4)                                       // 0000000093A0: BF8CC47F
	v_mfma_f32_16x16x32_bf16 v[50:53], a[144:147], v[42:45], v[50:53]// 0000000093A4: D3B50032 0CCA5590
	v_mfma_f32_16x16x32_bf16 v[54:57], a[148:151], v[42:45], v[54:57]// 0000000093AC: D3B50036 0CDA5594
	v_mfma_f32_16x16x32_bf16 v[58:61], a[152:155], v[42:45], v[58:61]// 0000000093B4: D3B5003A 0CEA5598
	v_mfma_f32_16x16x32_bf16 v[62:65], a[156:159], v[42:45], v[62:65]// 0000000093BC: D3B5003E 0CFA559C
	v_mfma_f32_16x16x32_bf16 v[66:69], a[160:163], v[42:45], v[66:69]// 0000000093C4: D3B50042 0D0A55A0
	v_mfma_f32_16x16x32_bf16 v[70:73], a[164:167], v[42:45], v[70:73]// 0000000093CC: D3B50046 0D1A55A4
	v_mfma_f32_16x16x32_bf16 v[74:77], a[168:171], v[42:45], v[74:77]// 0000000093D4: D3B5004A 0D2A55A8
	v_mfma_f32_16x16x32_bf16 v[78:81], a[172:175], v[42:45], v[78:81]// 0000000093DC: D3B5004E 0D3A55AC
	v_mfma_f32_16x16x32_bf16 v[82:85], a[176:179], v[42:45], v[82:85]// 0000000093E4: D3B50052 0D4A55B0
	v_mfma_f32_16x16x32_bf16 v[86:89], a[180:183], v[42:45], v[86:89]// 0000000093EC: D3B50056 0D5A55B4
	v_mfma_f32_16x16x32_bf16 v[90:93], a[184:187], v[42:45], v[90:93]// 0000000093F4: D3B5005A 0D6A55B8
	v_mfma_f32_16x16x32_bf16 v[94:97], a[188:191], v[42:45], v[94:97]// 0000000093FC: D3B5005E 0D7A55BC
	v_mfma_f32_16x16x32_bf16 v[98:101], a[192:195], v[42:45], v[98:101]// 000000009404: D3B50062 0D8A55C0
	v_mfma_f32_16x16x32_bf16 v[102:105], a[196:199], v[42:45], v[102:105]// 00000000940C: D3B50066 0D9A55C4
	v_mfma_f32_16x16x32_bf16 v[106:109], a[200:203], v[42:45], v[106:109]// 000000009414: D3B5006A 0DAA55C8
	v_mfma_f32_16x16x32_bf16 v[110:113], a[204:207], v[42:45], v[110:113]// 00000000941C: D3B5006E 0DBA55CC
	ds_read_b64_tr_b16 a[144:145], v14 offset:8192             // 000000009424: DBC62000 9000000E
	ds_read_b64_tr_b16 a[146:147], v14 offset:8448             // 00000000942C: DBC62100 9200000E
	ds_read_b64_tr_b16 a[148:149], v15 offset:8192             // 000000009434: DBC62000 9400000F
	ds_read_b64_tr_b16 a[150:151], v15 offset:8448             // 00000000943C: DBC62100 9600000F
	ds_read_b64_tr_b16 a[152:153], v14 offset:9216             // 000000009444: DBC62400 9800000E
	ds_read_b64_tr_b16 a[154:155], v14 offset:9472             // 00000000944C: DBC62500 9A00000E
	ds_read_b64_tr_b16 a[156:157], v15 offset:9216             // 000000009454: DBC62400 9C00000F
	ds_read_b64_tr_b16 a[158:159], v15 offset:9472             // 00000000945C: DBC62500 9E00000F
	ds_read_b64_tr_b16 a[160:161], v14 offset:10240            // 000000009464: DBC62800 A000000E
	ds_read_b64_tr_b16 a[162:163], v14 offset:10496            // 00000000946C: DBC62900 A200000E
	ds_read_b64_tr_b16 a[164:165], v15 offset:10240            // 000000009474: DBC62800 A400000F
	ds_read_b64_tr_b16 a[166:167], v15 offset:10496            // 00000000947C: DBC62900 A600000F
	ds_read_b64_tr_b16 a[168:169], v14 offset:11264            // 000000009484: DBC62C00 A800000E
	ds_read_b64_tr_b16 a[170:171], v14 offset:11520            // 00000000948C: DBC62D00 AA00000E
	ds_read_b64_tr_b16 a[172:173], v15 offset:11264            // 000000009494: DBC62C00 AC00000F
	ds_read_b64_tr_b16 a[174:175], v15 offset:11520            // 00000000949C: DBC62D00 AE00000F
	ds_read_b64_tr_b16 a[176:177], v14 offset:12288            // 0000000094A4: DBC63000 B000000E
	ds_read_b64_tr_b16 a[178:179], v14 offset:12544            // 0000000094AC: DBC63100 B200000E
	ds_read_b64_tr_b16 a[180:181], v15 offset:12288            // 0000000094B4: DBC63000 B400000F
	ds_read_b64_tr_b16 a[182:183], v15 offset:12544            // 0000000094BC: DBC63100 B600000F
	ds_read_b64_tr_b16 a[184:185], v14 offset:13312            // 0000000094C4: DBC63400 B800000E
	ds_read_b64_tr_b16 a[186:187], v14 offset:13568            // 0000000094CC: DBC63500 BA00000E
	ds_read_b64_tr_b16 a[188:189], v15 offset:13312            // 0000000094D4: DBC63400 BC00000F
	ds_read_b64_tr_b16 a[190:191], v15 offset:13568            // 0000000094DC: DBC63500 BE00000F
	ds_read_b64_tr_b16 a[192:193], v14 offset:14336            // 0000000094E4: DBC63800 C000000E
	ds_read_b64_tr_b16 a[194:195], v14 offset:14592            // 0000000094EC: DBC63900 C200000E
	ds_read_b64_tr_b16 a[196:197], v15 offset:14336            // 0000000094F4: DBC63800 C400000F
	ds_read_b64_tr_b16 a[198:199], v15 offset:14592            // 0000000094FC: DBC63900 C600000F
	ds_read_b64_tr_b16 a[200:201], v14 offset:15360            // 000000009504: DBC63C00 C800000E
	ds_read_b64_tr_b16 a[202:203], v14 offset:15616            // 00000000950C: DBC63D00 CA00000E
	ds_read_b64_tr_b16 a[204:205], v15 offset:15360            // 000000009514: DBC63C00 CC00000F
	ds_read_b64_tr_b16 a[206:207], v15 offset:15616            // 00000000951C: DBC63D00 CE00000F
	s_waitcnt lgkmcnt(0)                                       // 000000009524: BF8CC07F
	v_mfma_f32_16x16x32_bf16 v[114:117], a[144:147], v[42:45], v[114:117]// 000000009528: D3B50072 0DCA5590
	v_mfma_f32_16x16x32_bf16 v[118:121], a[148:151], v[42:45], v[118:121]// 000000009530: D3B50076 0DDA5594
	v_mfma_f32_16x16x32_bf16 v[122:125], a[152:155], v[42:45], v[122:125]// 000000009538: D3B5007A 0DEA5598
	v_mfma_f32_16x16x32_bf16 v[126:129], a[156:159], v[42:45], v[126:129]// 000000009540: D3B5007E 0DFA559C
	v_mfma_f32_16x16x32_bf16 v[130:133], a[160:163], v[42:45], v[130:133]// 000000009548: D3B50082 0E0A55A0
	v_mfma_f32_16x16x32_bf16 v[134:137], a[164:167], v[42:45], v[134:137]// 000000009550: D3B50086 0E1A55A4
	v_mfma_f32_16x16x32_bf16 v[138:141], a[168:171], v[42:45], v[138:141]// 000000009558: D3B5008A 0E2A55A8
	v_mfma_f32_16x16x32_bf16 v[142:145], a[172:175], v[42:45], v[142:145]// 000000009560: D3B5008E 0E3A55AC
	v_mfma_f32_16x16x32_bf16 v[146:149], a[176:179], v[42:45], v[146:149]// 000000009568: D3B50092 0E4A55B0
	v_mfma_f32_16x16x32_bf16 v[150:153], a[180:183], v[42:45], v[150:153]// 000000009570: D3B50096 0E5A55B4
	v_mfma_f32_16x16x32_bf16 v[154:157], a[184:187], v[42:45], v[154:157]// 000000009578: D3B5009A 0E6A55B8
	v_mfma_f32_16x16x32_bf16 v[158:161], a[188:191], v[42:45], v[158:161]// 000000009580: D3B5009E 0E7A55BC
	v_mfma_f32_16x16x32_bf16 v[162:165], a[192:195], v[42:45], v[162:165]// 000000009588: D3B500A2 0E8A55C0
	v_mfma_f32_16x16x32_bf16 v[166:169], a[196:199], v[42:45], v[166:169]// 000000009590: D3B500A6 0E9A55C4
	v_mfma_f32_16x16x32_bf16 v[170:173], a[200:203], v[42:45], v[170:173]// 000000009598: D3B500AA 0EAA55C8
	v_mfma_f32_16x16x32_bf16 v[174:177], a[204:207], v[42:45], v[174:177]// 0000000095A0: D3B500AE 0EBA55CC
	ds_read_b64_tr_b16 a[144:145], v8                          // 0000000095A8: DBC60000 90000008
	ds_read_b64_tr_b16 a[146:147], v8 offset:256               // 0000000095B0: DBC60100 92000008
	ds_read_b64_tr_b16 a[148:149], v9                          // 0000000095B8: DBC60000 94000009
	ds_read_b64_tr_b16 a[150:151], v9 offset:256               // 0000000095C0: DBC60100 96000009
	ds_read_b64_tr_b16 a[152:153], v8 offset:1024              // 0000000095C8: DBC60400 98000008
	ds_read_b64_tr_b16 a[154:155], v8 offset:1280              // 0000000095D0: DBC60500 9A000008
	ds_read_b64_tr_b16 a[156:157], v9 offset:1024              // 0000000095D8: DBC60400 9C000009
	ds_read_b64_tr_b16 a[158:159], v9 offset:1280              // 0000000095E0: DBC60500 9E000009
	ds_read_b64_tr_b16 a[160:161], v8 offset:2048              // 0000000095E8: DBC60800 A0000008
	ds_read_b64_tr_b16 a[162:163], v8 offset:2304              // 0000000095F0: DBC60900 A2000008
	ds_read_b64_tr_b16 a[164:165], v9 offset:2048              // 0000000095F8: DBC60800 A4000009
	ds_read_b64_tr_b16 a[166:167], v9 offset:2304              // 000000009600: DBC60900 A6000009
	ds_read_b64_tr_b16 a[168:169], v8 offset:3072              // 000000009608: DBC60C00 A8000008
	ds_read_b64_tr_b16 a[170:171], v8 offset:3328              // 000000009610: DBC60D00 AA000008
	ds_read_b64_tr_b16 a[172:173], v9 offset:3072              // 000000009618: DBC60C00 AC000009
	ds_read_b64_tr_b16 a[174:175], v9 offset:3328              // 000000009620: DBC60D00 AE000009
	ds_read_b64_tr_b16 a[176:177], v8 offset:4096              // 000000009628: DBC61000 B0000008
	ds_read_b64_tr_b16 a[178:179], v8 offset:4352              // 000000009630: DBC61100 B2000008
	ds_read_b64_tr_b16 a[180:181], v9 offset:4096              // 000000009638: DBC61000 B4000009
	ds_read_b64_tr_b16 a[182:183], v9 offset:4352              // 000000009640: DBC61100 B6000009
	ds_read_b64_tr_b16 a[184:185], v8 offset:5120              // 000000009648: DBC61400 B8000008
	ds_read_b64_tr_b16 a[186:187], v8 offset:5376              // 000000009650: DBC61500 BA000008
	ds_read_b64_tr_b16 a[188:189], v9 offset:5120              // 000000009658: DBC61400 BC000009
	ds_read_b64_tr_b16 a[190:191], v9 offset:5376              // 000000009660: DBC61500 BE000009
	ds_read_b64_tr_b16 a[192:193], v8 offset:6144              // 000000009668: DBC61800 C0000008
	ds_read_b64_tr_b16 a[194:195], v8 offset:6400              // 000000009670: DBC61900 C2000008
	ds_read_b64_tr_b16 a[196:197], v9 offset:6144              // 000000009678: DBC61800 C4000009
	ds_read_b64_tr_b16 a[198:199], v9 offset:6400              // 000000009680: DBC61900 C6000009
	ds_read_b64_tr_b16 a[200:201], v8 offset:7168              // 000000009688: DBC61C00 C8000008
	ds_read_b64_tr_b16 a[202:203], v8 offset:7424              // 000000009690: DBC61D00 CA000008
	ds_read_b64_tr_b16 a[204:205], v9 offset:7168              // 000000009698: DBC61C00 CC000009
	ds_read_b64_tr_b16 a[206:207], v9 offset:7424              // 0000000096A0: DBC61D00 CE000009
	v_mov_b32_e32 v30, v16                                     // 0000000096A8: 7E3C0310
	v_mov_b32_e32 v31, v16                                     // 0000000096AC: 7E3E0310
	v_pk_mul_f32 v[50:51], v[30:31], v[50:51]                  // 0000000096B0: D3B14032 1802651E
	v_pk_mul_f32 v[52:53], v[30:31], v[52:53]                  // 0000000096B8: D3B14034 1802691E
	v_pk_mul_f32 v[54:55], v[30:31], v[54:55]                  // 0000000096C0: D3B14036 18026D1E
	v_pk_mul_f32 v[56:57], v[30:31], v[56:57]                  // 0000000096C8: D3B14038 1802711E
	v_pk_mul_f32 v[58:59], v[30:31], v[58:59]                  // 0000000096D0: D3B1403A 1802751E
	v_pk_mul_f32 v[60:61], v[30:31], v[60:61]                  // 0000000096D8: D3B1403C 1802791E
	v_pk_mul_f32 v[62:63], v[30:31], v[62:63]                  // 0000000096E0: D3B1403E 18027D1E
	v_pk_mul_f32 v[64:65], v[30:31], v[64:65]                  // 0000000096E8: D3B14040 1802811E
	v_pk_mul_f32 v[66:67], v[30:31], v[66:67]                  // 0000000096F0: D3B14042 1802851E
	v_pk_mul_f32 v[68:69], v[30:31], v[68:69]                  // 0000000096F8: D3B14044 1802891E
	v_pk_mul_f32 v[70:71], v[30:31], v[70:71]                  // 000000009700: D3B14046 18028D1E
	v_pk_mul_f32 v[72:73], v[30:31], v[72:73]                  // 000000009708: D3B14048 1802911E
	v_pk_mul_f32 v[74:75], v[30:31], v[74:75]                  // 000000009710: D3B1404A 1802951E
	v_pk_mul_f32 v[76:77], v[30:31], v[76:77]                  // 000000009718: D3B1404C 1802991E
	v_pk_mul_f32 v[78:79], v[30:31], v[78:79]                  // 000000009720: D3B1404E 18029D1E
	v_pk_mul_f32 v[80:81], v[30:31], v[80:81]                  // 000000009728: D3B14050 1802A11E
	v_pk_mul_f32 v[82:83], v[30:31], v[82:83]                  // 000000009730: D3B14052 1802A51E
	v_pk_mul_f32 v[84:85], v[30:31], v[84:85]                  // 000000009738: D3B14054 1802A91E
	v_pk_mul_f32 v[86:87], v[30:31], v[86:87]                  // 000000009740: D3B14056 1802AD1E
	v_pk_mul_f32 v[88:89], v[30:31], v[88:89]                  // 000000009748: D3B14058 1802B11E
	v_pk_mul_f32 v[90:91], v[30:31], v[90:91]                  // 000000009750: D3B1405A 1802B51E
	v_pk_mul_f32 v[92:93], v[30:31], v[92:93]                  // 000000009758: D3B1405C 1802B91E
	v_pk_mul_f32 v[94:95], v[30:31], v[94:95]                  // 000000009760: D3B1405E 1802BD1E
	v_pk_mul_f32 v[96:97], v[30:31], v[96:97]                  // 000000009768: D3B14060 1802C11E
	v_pk_mul_f32 v[98:99], v[30:31], v[98:99]                  // 000000009770: D3B14062 1802C51E
	v_pk_mul_f32 v[100:101], v[30:31], v[100:101]              // 000000009778: D3B14064 1802C91E
	v_pk_mul_f32 v[102:103], v[30:31], v[102:103]              // 000000009780: D3B14066 1802CD1E
	v_pk_mul_f32 v[104:105], v[30:31], v[104:105]              // 000000009788: D3B14068 1802D11E
	v_pk_mul_f32 v[106:107], v[30:31], v[106:107]              // 000000009790: D3B1406A 1802D51E
	v_pk_mul_f32 v[108:109], v[30:31], v[108:109]              // 000000009798: D3B1406C 1802D91E
	v_pk_mul_f32 v[110:111], v[30:31], v[110:111]              // 0000000097A0: D3B1406E 1802DD1E
	v_pk_mul_f32 v[112:113], v[30:31], v[112:113]              // 0000000097A8: D3B14070 1802E11E
	v_pk_mul_f32 v[114:115], v[30:31], v[114:115]              // 0000000097B0: D3B14072 1802E51E
	v_pk_mul_f32 v[116:117], v[30:31], v[116:117]              // 0000000097B8: D3B14074 1802E91E
	v_pk_mul_f32 v[118:119], v[30:31], v[118:119]              // 0000000097C0: D3B14076 1802ED1E
	v_pk_mul_f32 v[120:121], v[30:31], v[120:121]              // 0000000097C8: D3B14078 1802F11E
	v_pk_mul_f32 v[122:123], v[30:31], v[122:123]              // 0000000097D0: D3B1407A 1802F51E
	v_pk_mul_f32 v[124:125], v[30:31], v[124:125]              // 0000000097D8: D3B1407C 1802F91E
	v_pk_mul_f32 v[126:127], v[30:31], v[126:127]              // 0000000097E0: D3B1407E 1802FD1E
	v_pk_mul_f32 v[128:129], v[30:31], v[128:129]              // 0000000097E8: D3B14080 1803011E
	v_pk_mul_f32 v[130:131], v[30:31], v[130:131]              // 0000000097F0: D3B14082 1803051E
	v_pk_mul_f32 v[132:133], v[30:31], v[132:133]              // 0000000097F8: D3B14084 1803091E
	v_pk_mul_f32 v[134:135], v[30:31], v[134:135]              // 000000009800: D3B14086 18030D1E
	v_pk_mul_f32 v[136:137], v[30:31], v[136:137]              // 000000009808: D3B14088 1803111E
	v_pk_mul_f32 v[138:139], v[30:31], v[138:139]              // 000000009810: D3B1408A 1803151E
	v_pk_mul_f32 v[140:141], v[30:31], v[140:141]              // 000000009818: D3B1408C 1803191E
	v_pk_mul_f32 v[142:143], v[30:31], v[142:143]              // 000000009820: D3B1408E 18031D1E
	v_pk_mul_f32 v[144:145], v[30:31], v[144:145]              // 000000009828: D3B14090 1803211E
	v_pk_mul_f32 v[146:147], v[30:31], v[146:147]              // 000000009830: D3B14092 1803251E
	v_pk_mul_f32 v[148:149], v[30:31], v[148:149]              // 000000009838: D3B14094 1803291E
	v_pk_mul_f32 v[150:151], v[30:31], v[150:151]              // 000000009840: D3B14096 18032D1E
	v_pk_mul_f32 v[152:153], v[30:31], v[152:153]              // 000000009848: D3B14098 1803311E
	v_pk_mul_f32 v[154:155], v[30:31], v[154:155]              // 000000009850: D3B1409A 1803351E
	v_pk_mul_f32 v[156:157], v[30:31], v[156:157]              // 000000009858: D3B1409C 1803391E
	v_pk_mul_f32 v[158:159], v[30:31], v[158:159]              // 000000009860: D3B1409E 18033D1E
	v_pk_mul_f32 v[160:161], v[30:31], v[160:161]              // 000000009868: D3B140A0 1803411E
	v_pk_mul_f32 v[162:163], v[30:31], v[162:163]              // 000000009870: D3B140A2 1803451E
	v_pk_mul_f32 v[164:165], v[30:31], v[164:165]              // 000000009878: D3B140A4 1803491E
	v_pk_mul_f32 v[166:167], v[30:31], v[166:167]              // 000000009880: D3B140A6 18034D1E
	v_pk_mul_f32 v[168:169], v[30:31], v[168:169]              // 000000009888: D3B140A8 1803511E
	v_pk_mul_f32 v[170:171], v[30:31], v[170:171]              // 000000009890: D3B140AA 1803551E
	v_pk_mul_f32 v[172:173], v[30:31], v[172:173]              // 000000009898: D3B140AC 1803591E
	v_pk_mul_f32 v[174:175], v[30:31], v[174:175]              // 0000000098A0: D3B140AE 18035D1E
	v_pk_mul_f32 v[176:177], v[30:31], v[176:177]              // 0000000098A8: D3B140B0 1803611E
	s_waitcnt lgkmcnt(4)                                       // 0000000098B0: BF8CC47F
	v_mfma_f32_16x16x32_bf16 v[50:53], a[144:147], v[34:37], v[50:53]// 0000000098B4: D3B50032 0CCA4590
	v_mfma_f32_16x16x32_bf16 v[54:57], a[148:151], v[34:37], v[54:57]// 0000000098BC: D3B50036 0CDA4594
	v_mfma_f32_16x16x32_bf16 v[58:61], a[152:155], v[34:37], v[58:61]// 0000000098C4: D3B5003A 0CEA4598
	v_mfma_f32_16x16x32_bf16 v[62:65], a[156:159], v[34:37], v[62:65]// 0000000098CC: D3B5003E 0CFA459C
	v_mfma_f32_16x16x32_bf16 v[66:69], a[160:163], v[34:37], v[66:69]// 0000000098D4: D3B50042 0D0A45A0
	v_mfma_f32_16x16x32_bf16 v[70:73], a[164:167], v[34:37], v[70:73]// 0000000098DC: D3B50046 0D1A45A4
	v_mfma_f32_16x16x32_bf16 v[74:77], a[168:171], v[34:37], v[74:77]// 0000000098E4: D3B5004A 0D2A45A8
	v_mfma_f32_16x16x32_bf16 v[78:81], a[172:175], v[34:37], v[78:81]// 0000000098EC: D3B5004E 0D3A45AC
	v_mfma_f32_16x16x32_bf16 v[82:85], a[176:179], v[34:37], v[82:85]// 0000000098F4: D3B50052 0D4A45B0
	v_mfma_f32_16x16x32_bf16 v[86:89], a[180:183], v[34:37], v[86:89]// 0000000098FC: D3B50056 0D5A45B4
	v_mfma_f32_16x16x32_bf16 v[90:93], a[184:187], v[34:37], v[90:93]// 000000009904: D3B5005A 0D6A45B8
	v_mfma_f32_16x16x32_bf16 v[94:97], a[188:191], v[34:37], v[94:97]// 00000000990C: D3B5005E 0D7A45BC
	v_mfma_f32_16x16x32_bf16 v[98:101], a[192:195], v[34:37], v[98:101]// 000000009914: D3B50062 0D8A45C0
	v_mfma_f32_16x16x32_bf16 v[102:105], a[196:199], v[34:37], v[102:105]// 00000000991C: D3B50066 0D9A45C4
	v_mfma_f32_16x16x32_bf16 v[106:109], a[200:203], v[34:37], v[106:109]// 000000009924: D3B5006A 0DAA45C8
	v_mfma_f32_16x16x32_bf16 v[110:113], a[204:207], v[34:37], v[110:113]// 00000000992C: D3B5006E 0DBA45CC
	ds_read_b64_tr_b16 a[144:145], v8 offset:8192              // 000000009934: DBC62000 90000008
	ds_read_b64_tr_b16 a[146:147], v8 offset:8448              // 00000000993C: DBC62100 92000008
	ds_read_b64_tr_b16 a[148:149], v9 offset:8192              // 000000009944: DBC62000 94000009
	ds_read_b64_tr_b16 a[150:151], v9 offset:8448              // 00000000994C: DBC62100 96000009
	ds_read_b64_tr_b16 a[152:153], v8 offset:9216              // 000000009954: DBC62400 98000008
	ds_read_b64_tr_b16 a[154:155], v8 offset:9472              // 00000000995C: DBC62500 9A000008
	ds_read_b64_tr_b16 a[156:157], v9 offset:9216              // 000000009964: DBC62400 9C000009
	ds_read_b64_tr_b16 a[158:159], v9 offset:9472              // 00000000996C: DBC62500 9E000009
	ds_read_b64_tr_b16 a[160:161], v8 offset:10240             // 000000009974: DBC62800 A0000008
	ds_read_b64_tr_b16 a[162:163], v8 offset:10496             // 00000000997C: DBC62900 A2000008
	ds_read_b64_tr_b16 a[164:165], v9 offset:10240             // 000000009984: DBC62800 A4000009
	ds_read_b64_tr_b16 a[166:167], v9 offset:10496             // 00000000998C: DBC62900 A6000009
	ds_read_b64_tr_b16 a[168:169], v8 offset:11264             // 000000009994: DBC62C00 A8000008
	ds_read_b64_tr_b16 a[170:171], v8 offset:11520             // 00000000999C: DBC62D00 AA000008
	ds_read_b64_tr_b16 a[172:173], v9 offset:11264             // 0000000099A4: DBC62C00 AC000009
	ds_read_b64_tr_b16 a[174:175], v9 offset:11520             // 0000000099AC: DBC62D00 AE000009
	ds_read_b64_tr_b16 a[176:177], v8 offset:12288             // 0000000099B4: DBC63000 B0000008
	ds_read_b64_tr_b16 a[178:179], v8 offset:12544             // 0000000099BC: DBC63100 B2000008
	ds_read_b64_tr_b16 a[180:181], v9 offset:12288             // 0000000099C4: DBC63000 B4000009
	ds_read_b64_tr_b16 a[182:183], v9 offset:12544             // 0000000099CC: DBC63100 B6000009
	ds_read_b64_tr_b16 a[184:185], v8 offset:13312             // 0000000099D4: DBC63400 B8000008
	ds_read_b64_tr_b16 a[186:187], v8 offset:13568             // 0000000099DC: DBC63500 BA000008
	ds_read_b64_tr_b16 a[188:189], v9 offset:13312             // 0000000099E4: DBC63400 BC000009
	ds_read_b64_tr_b16 a[190:191], v9 offset:13568             // 0000000099EC: DBC63500 BE000009
	ds_read_b64_tr_b16 a[192:193], v8 offset:14336             // 0000000099F4: DBC63800 C0000008
	ds_read_b64_tr_b16 a[194:195], v8 offset:14592             // 0000000099FC: DBC63900 C2000008
	ds_read_b64_tr_b16 a[196:197], v9 offset:14336             // 000000009A04: DBC63800 C4000009
	ds_read_b64_tr_b16 a[198:199], v9 offset:14592             // 000000009A0C: DBC63900 C6000009
	ds_read_b64_tr_b16 a[200:201], v8 offset:15360             // 000000009A14: DBC63C00 C8000008
	ds_read_b64_tr_b16 a[202:203], v8 offset:15616             // 000000009A1C: DBC63D00 CA000008
	ds_read_b64_tr_b16 a[204:205], v9 offset:15360             // 000000009A24: DBC63C00 CC000009
	ds_read_b64_tr_b16 a[206:207], v9 offset:15616             // 000000009A2C: DBC63D00 CE000009
	s_waitcnt vmcnt(0)                                         // 000000009A34: BF8C0F70
	s_barrier                                                  // 000000009A38: BF8A0000
	s_waitcnt lgkmcnt(0)                                       // 000000009A3C: BF8CC07F
	v_mfma_f32_16x16x32_bf16 v[114:117], a[144:147], v[34:37], v[114:117]// 000000009A40: D3B50072 0DCA4590
	ds_read_b128 a[72:75], v19                                 // 000000009A48: DBFE0000 48000013
	ds_read_b128 a[76:79], v19 offset:1024                     // 000000009A50: DBFE0400 4C000013
	v_mfma_f32_16x16x32_bf16 v[118:121], a[148:151], v[34:37], v[118:121]// 000000009A58: D3B50076 0DDA4594
	ds_read_b128 a[80:83], v19 offset:2048                     // 000000009A60: DBFE0800 50000013
	ds_read_b128 a[84:87], v19 offset:3072                     // 000000009A68: DBFE0C00 54000013
	v_mfma_f32_16x16x32_bf16 v[122:125], a[152:155], v[34:37], v[122:125]// 000000009A70: D3B5007A 0DEA4598
	ds_read_b128 a[88:91], v19 offset:4096                     // 000000009A78: DBFE1000 58000013
	ds_read_b128 a[92:95], v19 offset:5120                     // 000000009A80: DBFE1400 5C000013
	v_mfma_f32_16x16x32_bf16 v[126:129], a[156:159], v[34:37], v[126:129]// 000000009A88: D3B5007E 0DFA459C
	ds_read_b128 a[96:99], v19 offset:6144                     // 000000009A90: DBFE1800 60000013
	ds_read_b128 a[100:103], v19 offset:7168                   // 000000009A98: DBFE1C00 64000013
	v_mfma_f32_16x16x32_bf16 v[130:133], a[160:163], v[34:37], v[130:133]// 000000009AA0: D3B50082 0E0A45A0
	ds_read_b128 a[104:107], v19 offset:8192                   // 000000009AA8: DBFE2000 68000013
	ds_read_b128 a[108:111], v19 offset:9216                   // 000000009AB0: DBFE2400 6C000013
	v_mfma_f32_16x16x32_bf16 v[134:137], a[164:167], v[34:37], v[134:137]// 000000009AB8: D3B50086 0E1A45A4
	ds_read_b128 a[112:115], v19 offset:10240                  // 000000009AC0: DBFE2800 70000013
	ds_read_b128 a[116:119], v19 offset:11264                  // 000000009AC8: DBFE2C00 74000013
	v_mfma_f32_16x16x32_bf16 v[138:141], a[168:171], v[34:37], v[138:141]// 000000009AD0: D3B5008A 0E2A45A8
	ds_read_b128 a[120:123], v19 offset:12288                  // 000000009AD8: DBFE3000 78000013
	ds_read_b128 a[124:127], v19 offset:13312                  // 000000009AE0: DBFE3400 7C000013
	v_mfma_f32_16x16x32_bf16 v[142:145], a[172:175], v[34:37], v[142:145]// 000000009AE8: D3B5008E 0E3A45AC
	ds_read_b128 a[128:131], v19 offset:14336                  // 000000009AF0: DBFE3800 80000013
	ds_read_b128 a[132:135], v19 offset:15360                  // 000000009AF8: DBFE3C00 84000013
	v_mfma_f32_16x16x32_bf16 v[146:149], a[176:179], v[34:37], v[146:149]// 000000009B00: D3B50092 0E4A45B0
	ds_read_b128 a[136:139], v19 offset:16384                  // 000000009B08: DBFE4000 88000013
	ds_read_b128 a[140:143], v19 offset:17408                  // 000000009B10: DBFE4400 8C000013
	v_mfma_f32_16x16x32_bf16 v[150:153], a[180:183], v[34:37], v[150:153]// 000000009B18: D3B50096 0E5A45B4
	v_mfma_f32_16x16x32_bf16 v[154:157], a[184:187], v[34:37], v[154:157]// 000000009B20: D3B5009A 0E6A45B8
	v_mfma_f32_16x16x32_bf16 v[158:161], a[188:191], v[34:37], v[158:161]// 000000009B28: D3B5009E 0E7A45BC
	v_mfma_f32_16x16x32_bf16 v[162:165], a[192:195], v[34:37], v[162:165]// 000000009B30: D3B500A2 0E8A45C0
	v_mfma_f32_16x16x32_bf16 v[166:169], a[196:199], v[34:37], v[166:169]// 000000009B38: D3B500A6 0E9A45C4
	v_mfma_f32_16x16x32_bf16 v[170:173], a[200:203], v[34:37], v[170:173]// 000000009B40: D3B500AA 0EAA45C8
	v_mfma_f32_16x16x32_bf16 v[174:177], a[204:207], v[34:37], v[174:177]// 000000009B48: D3B500AE 0EBA45CC
	s_branch label_8C94                                        // 000000009B50: BF820510

0000000000009b54 <label_7854>:
	s_sub_u32 s56, s71, 2                                      // 000000009B54: 80B88247
	s_mul_i32 s56, s84, s56                                    // 000000009B58: 92383854
	s_add_u32 s83, s56, s83                                    // 000000009B5C: 80535338
	s_cmp_le_i32 s83, s82                                      // 000000009B60: BF055253
	s_cbranch_scc1 label_7970                                  // 000000009B64: BF850042
	v_mov_b32_e32 v28, s82                                     // 000000009B68: 7E380252
	s_cmp_eq_i32 s81, 1                                        // 000000009B6C: BF008151
	s_cbranch_scc1 label_788C                                  // 000000009B70: BF850006
	s_cmp_eq_i32 s81, 2                                        // 000000009B74: BF008251
	s_cbranch_scc1 label_7884                                  // 000000009B78: BF850002
	v_add_u32_e32 v28, s7, v28                                 // 000000009B7C: 68383807
	s_branch label_788C                                        // 000000009B80: BF820002

0000000000009b84 <label_7884>:
	s_lshr_b32 s56, s7, 1                                      // 000000009B84: 8F388107
	v_add_u32_e32 v28, s56, v28                                // 000000009B88: 68383838

0000000000009b8c <label_788C>:
	s_sub_u32 s56, s83, 31                                     // 000000009B8C: 80B89F53
	v_lshrrev_b32_e32 v18, 4, v0                               // 000000009B90: 20240084
	v_mul_i32_i24_e32 v18, 4, v18                              // 000000009B94: 0C242484
	v_add_u32_e32 v18, s56, v18                                // 000000009B98: 68242438
	v_add_u32_e32 v19, 1, v18                                  // 000000009B9C: 68262481
	v_add_u32_e32 v20, 2, v18                                  // 000000009BA0: 68282482
	v_add_u32_e32 v21, 3, v18                                  // 000000009BA4: 682A2483
	v_mov_b32_e32 v29, 0xff800000                              // 000000009BA8: 7E3A02FF FF800000
	v_cmp_le_u32_e64 s[36:37], v18, v28                        // 000000009BB0: D0CB0024 00023912
	v_add_u32_e32 v18, 16, v18                                 // 000000009BB8: 68242490
	s_nop 0                                                    // 000000009BBC: BF800000
	v_cndmask_b32_e64 v42, v29, v42, s[36:37]                  // 000000009BC0: D100002A 0092551D
	v_cmp_le_u32_e64 s[36:37], v19, v28                        // 000000009BC8: D0CB0024 00023913
	v_add_u32_e32 v19, 16, v19                                 // 000000009BD0: 68262690
	s_nop 0                                                    // 000000009BD4: BF800000
	v_cndmask_b32_e64 v43, v29, v43, s[36:37]                  // 000000009BD8: D100002B 0092571D
	v_cmp_le_u32_e64 s[36:37], v20, v28                        // 000000009BE0: D0CB0024 00023914
	v_add_u32_e32 v20, 16, v20                                 // 000000009BE8: 68282890
	s_nop 0                                                    // 000000009BEC: BF800000
	v_cndmask_b32_e64 v44, v29, v44, s[36:37]                  // 000000009BF0: D100002C 0092591D
	v_cmp_le_u32_e64 s[36:37], v21, v28                        // 000000009BF8: D0CB0024 00023915
	v_add_u32_e32 v21, 16, v21                                 // 000000009C00: 682A2A90
	s_nop 0                                                    // 000000009C04: BF800000
	v_cndmask_b32_e64 v45, v29, v45, s[36:37]                  // 000000009C08: D100002D 00925B1D
	v_cmp_le_u32_e64 s[36:37], v18, v28                        // 000000009C10: D0CB0024 00023912
	v_add_u32_e32 v18, 16, v18                                 // 000000009C18: 68242490
	s_nop 0                                                    // 000000009C1C: BF800000
	v_cndmask_b32_e64 v46, v29, v46, s[36:37]                  // 000000009C20: D100002E 00925D1D
	v_cmp_le_u32_e64 s[36:37], v19, v28                        // 000000009C28: D0CB0024 00023913
	v_add_u32_e32 v19, 16, v19                                 // 000000009C30: 68262690
	s_nop 0                                                    // 000000009C34: BF800000
	v_cndmask_b32_e64 v47, v29, v47, s[36:37]                  // 000000009C38: D100002F 00925F1D
	v_cmp_le_u32_e64 s[36:37], v20, v28                        // 000000009C40: D0CB0024 00023914
	v_add_u32_e32 v20, 16, v20                                 // 000000009C48: 68282890
	s_nop 0                                                    // 000000009C4C: BF800000
	v_cndmask_b32_e64 v48, v29, v48, s[36:37]                  // 000000009C50: D1000030 0092611D
	v_cmp_le_u32_e64 s[36:37], v21, v28                        // 000000009C58: D0CB0024 00023915
	v_add_u32_e32 v21, 16, v21                                 // 000000009C60: 682A2A90
	s_nop 0                                                    // 000000009C64: BF800000
	v_cndmask_b32_e64 v49, v29, v49, s[36:37]                  // 000000009C68: D1000031 0092631D

0000000000009c70 <label_7970>:
	s_add_u32 s83, s84, s83                                    // 000000009C70: 80535354
	s_nop 2                                                    // 000000009C74: BF800002
	v_mov_b32_e32 v29, v42                                     // 000000009C78: 7E3A032A
	v_max3_f32 v29, v42, v43, v29                              // 000000009C7C: D1D3001D 0476572A
	v_max3_f32 v29, v44, v45, v29                              // 000000009C84: D1D3001D 04765B2C
	v_max3_f32 v29, v46, v47, v29                              // 000000009C8C: D1D3001D 04765F2E
	v_max3_f32 v29, v48, v49, v29                              // 000000009C94: D1D3001D 04766330
	v_mov_b32_e32 v28, v29                                     // 000000009C9C: 7E38031D
	v_mov_b32_e32 v29, v29                                     // 000000009CA0: 7E3A031D
	s_nop 1                                                    // 000000009CA4: BF800001
	v_permlane16_swap_b32_e32 v28, v29                         // 000000009CA8: 7E38B31D
	v_mov_b32_e32 v31, v28                                     // 000000009CAC: 7E3E031C
	v_mov_b32_e32 v30, v29                                     // 000000009CB0: 7E3C031D
	s_nop 1                                                    // 000000009CB4: BF800001
	v_permlane32_swap_b32_e32 v28, v29                         // 000000009CB8: 7E38B51D
	v_permlane32_swap_b32_e32 v30, v31                         // 000000009CBC: 7E3CB51F
	v_max3_f32 v29, v28, v29, v29                              // 000000009CC0: D1D3001D 04763B1C
	v_max3_f32 v29, v30, v31, v29                              // 000000009CC8: D1D3001D 04763F1E
	v_mov_b32_e32 v28, 0xff800000                              // 000000009CD0: 7E3802FF FF800000
	v_cmp_eq_u32_e64 s[36:37], v28, v2                         // 000000009CD8: D0CA0024 0002051C
	v_max_f32_e32 v29, v29, v2                                 // 000000009CE0: 163A051D
	v_sub_f32_e32 v16, v2, v29                                 // 000000009CE4: 04203B02
	v_cndmask_b32_e64 v16, v16, 0, s[36:37]                    // 000000009CE8: D1000010 00910110
	v_mov_b32_e32 v2, v29                                      // 000000009CF0: 7E04031D
	v_mul_f32_e32 v29, s5, v29                                 // 000000009CF4: 0A3A3A05
	v_mul_f32_e32 v16, s5, v16                                 // 000000009CF8: 0A202005
	v_exp_f32_e32 v16, v16                                     // 000000009CFC: 7E204110
	v_fma_f32 v42, v42, s5, -v29                               // 000000009D00: D1CB002A 84740B2A
	v_fma_f32 v43, v43, s5, -v29                               // 000000009D08: D1CB002B 84740B2B
	v_fma_f32 v44, v44, s5, -v29                               // 000000009D10: D1CB002C 84740B2C
	v_fma_f32 v45, v45, s5, -v29                               // 000000009D18: D1CB002D 84740B2D
	v_fma_f32 v46, v46, s5, -v29                               // 000000009D20: D1CB002E 84740B2E
	v_fma_f32 v47, v47, s5, -v29                               // 000000009D28: D1CB002F 84740B2F
	v_fma_f32 v48, v48, s5, -v29                               // 000000009D30: D1CB0030 84740B30
	v_fma_f32 v49, v49, s5, -v29                               // 000000009D38: D1CB0031 84740B31
	v_exp_f32_e32 v42, v42                                     // 000000009D40: 7E54412A
	v_exp_f32_e32 v43, v43                                     // 000000009D44: 7E56412B
	v_exp_f32_e32 v44, v44                                     // 000000009D48: 7E58412C
	v_exp_f32_e32 v45, v45                                     // 000000009D4C: 7E5A412D
	v_exp_f32_e32 v46, v46                                     // 000000009D50: 7E5C412E
	v_exp_f32_e32 v47, v47                                     // 000000009D54: 7E5E412F
	v_exp_f32_e32 v48, v48                                     // 000000009D58: 7E604130
	v_exp_f32_e32 v49, v49                                     // 000000009D5C: 7E624131
	v_mul_f32_e32 v4, v16, v4                                  // 000000009D60: 0A080910
	v_mov_b32_e32 v28, v42                                     // 000000009D64: 7E38032A
	v_add_f32_e32 v28, v43, v28                                // 000000009D68: 0238392B
	v_add_f32_e32 v28, v44, v28                                // 000000009D6C: 0238392C
	v_add_f32_e32 v28, v45, v28                                // 000000009D70: 0238392D
	v_add_f32_e32 v28, v46, v28                                // 000000009D74: 0238392E
	v_add_f32_e32 v28, v47, v28                                // 000000009D78: 0238392F
	v_add_f32_e32 v28, v48, v28                                // 000000009D7C: 02383930
	v_add_f32_e32 v28, v49, v28                                // 000000009D80: 02383931
	v_add_f32_e32 v4, v28, v4                                  // 000000009D84: 0208091C
	v_cvt_pk_bf16_f32 v42, v42, v43                            // 000000009D88: D268002A 0002572A
	v_cvt_pk_bf16_f32 v43, v44, v45                            // 000000009D90: D268002B 00025B2C
	v_cvt_pk_bf16_f32 v44, v46, v47                            // 000000009D98: D268002C 00025F2E
	v_cvt_pk_bf16_f32 v45, v48, v49                            // 000000009DA0: D268002D 00026330
	s_nop 0                                                    // 000000009DA8: BF800000
	v_permlane32_swap_b32_e32 v42, v44                         // 000000009DAC: 7E54B52C
	v_permlane32_swap_b32_e32 v43, v45                         // 000000009DB0: 7E56B52D
	s_nop 0                                                    // 000000009DB4: BF800000
	v_permlane16_swap_b32_e32 v42, v44                         // 000000009DB8: 7E54B32C
	v_permlane16_swap_b32_e32 v43, v45                         // 000000009DBC: 7E56B32D
	s_waitcnt lgkmcnt(4)                                       // 000000009DC0: BF8CC47F
	v_mfma_f32_16x16x32_bf16 v[50:53], a[144:147], v[34:37], v[50:53]// 000000009DC4: D3B50032 0CCA4590
	v_mfma_f32_16x16x32_bf16 v[54:57], a[148:151], v[34:37], v[54:57]// 000000009DCC: D3B50036 0CDA4594
	v_mfma_f32_16x16x32_bf16 v[58:61], a[152:155], v[34:37], v[58:61]// 000000009DD4: D3B5003A 0CEA4598
	v_mfma_f32_16x16x32_bf16 v[62:65], a[156:159], v[34:37], v[62:65]// 000000009DDC: D3B5003E 0CFA459C
	v_mfma_f32_16x16x32_bf16 v[66:69], a[160:163], v[34:37], v[66:69]// 000000009DE4: D3B50042 0D0A45A0
	v_mfma_f32_16x16x32_bf16 v[70:73], a[164:167], v[34:37], v[70:73]// 000000009DEC: D3B50046 0D1A45A4
	v_mfma_f32_16x16x32_bf16 v[74:77], a[168:171], v[34:37], v[74:77]// 000000009DF4: D3B5004A 0D2A45A8
	v_mfma_f32_16x16x32_bf16 v[78:81], a[172:175], v[34:37], v[78:81]// 000000009DFC: D3B5004E 0D3A45AC
	v_mfma_f32_16x16x32_bf16 v[82:85], a[176:179], v[34:37], v[82:85]// 000000009E04: D3B50052 0D4A45B0
	v_mfma_f32_16x16x32_bf16 v[86:89], a[180:183], v[34:37], v[86:89]// 000000009E0C: D3B50056 0D5A45B4
	v_mfma_f32_16x16x32_bf16 v[90:93], a[184:187], v[34:37], v[90:93]// 000000009E14: D3B5005A 0D6A45B8
	v_mfma_f32_16x16x32_bf16 v[94:97], a[188:191], v[34:37], v[94:97]// 000000009E1C: D3B5005E 0D7A45BC
	v_mfma_f32_16x16x32_bf16 v[98:101], a[192:195], v[34:37], v[98:101]// 000000009E24: D3B50062 0D8A45C0
	v_mfma_f32_16x16x32_bf16 v[102:105], a[196:199], v[34:37], v[102:105]// 000000009E2C: D3B50066 0D9A45C4
	v_mfma_f32_16x16x32_bf16 v[106:109], a[200:203], v[34:37], v[106:109]// 000000009E34: D3B5006A 0DAA45C8
	v_mfma_f32_16x16x32_bf16 v[110:113], a[204:207], v[34:37], v[110:113]// 000000009E3C: D3B5006E 0DBA45CC
	ds_read_b64_tr_b16 a[144:145], v8 offset:8192              // 000000009E44: DBC62000 90000008
	ds_read_b64_tr_b16 a[146:147], v8 offset:8448              // 000000009E4C: DBC62100 92000008
	ds_read_b64_tr_b16 a[148:149], v9 offset:8192              // 000000009E54: DBC62000 94000009
	ds_read_b64_tr_b16 a[150:151], v9 offset:8448              // 000000009E5C: DBC62100 96000009
	ds_read_b64_tr_b16 a[152:153], v8 offset:9216              // 000000009E64: DBC62400 98000008
	ds_read_b64_tr_b16 a[154:155], v8 offset:9472              // 000000009E6C: DBC62500 9A000008
	ds_read_b64_tr_b16 a[156:157], v9 offset:9216              // 000000009E74: DBC62400 9C000009
	ds_read_b64_tr_b16 a[158:159], v9 offset:9472              // 000000009E7C: DBC62500 9E000009
	ds_read_b64_tr_b16 a[160:161], v8 offset:10240             // 000000009E84: DBC62800 A0000008
	ds_read_b64_tr_b16 a[162:163], v8 offset:10496             // 000000009E8C: DBC62900 A2000008
	ds_read_b64_tr_b16 a[164:165], v9 offset:10240             // 000000009E94: DBC62800 A4000009
	ds_read_b64_tr_b16 a[166:167], v9 offset:10496             // 000000009E9C: DBC62900 A6000009
	ds_read_b64_tr_b16 a[168:169], v8 offset:11264             // 000000009EA4: DBC62C00 A8000008
	ds_read_b64_tr_b16 a[170:171], v8 offset:11520             // 000000009EAC: DBC62D00 AA000008
	ds_read_b64_tr_b16 a[172:173], v9 offset:11264             // 000000009EB4: DBC62C00 AC000009
	ds_read_b64_tr_b16 a[174:175], v9 offset:11520             // 000000009EBC: DBC62D00 AE000009
	ds_read_b64_tr_b16 a[176:177], v8 offset:12288             // 000000009EC4: DBC63000 B0000008
	ds_read_b64_tr_b16 a[178:179], v8 offset:12544             // 000000009ECC: DBC63100 B2000008
	ds_read_b64_tr_b16 a[180:181], v9 offset:12288             // 000000009ED4: DBC63000 B4000009
	ds_read_b64_tr_b16 a[182:183], v9 offset:12544             // 000000009EDC: DBC63100 B6000009
	ds_read_b64_tr_b16 a[184:185], v8 offset:13312             // 000000009EE4: DBC63400 B8000008
	ds_read_b64_tr_b16 a[186:187], v8 offset:13568             // 000000009EEC: DBC63500 BA000008
	ds_read_b64_tr_b16 a[188:189], v9 offset:13312             // 000000009EF4: DBC63400 BC000009
	ds_read_b64_tr_b16 a[190:191], v9 offset:13568             // 000000009EFC: DBC63500 BE000009
	ds_read_b64_tr_b16 a[192:193], v8 offset:14336             // 000000009F04: DBC63800 C0000008
	ds_read_b64_tr_b16 a[194:195], v8 offset:14592             // 000000009F0C: DBC63900 C2000008
	ds_read_b64_tr_b16 a[196:197], v9 offset:14336             // 000000009F14: DBC63800 C4000009
	ds_read_b64_tr_b16 a[198:199], v9 offset:14592             // 000000009F1C: DBC63900 C6000009
	ds_read_b64_tr_b16 a[200:201], v8 offset:15360             // 000000009F24: DBC63C00 C8000008
	ds_read_b64_tr_b16 a[202:203], v8 offset:15616             // 000000009F2C: DBC63D00 CA000008
	ds_read_b64_tr_b16 a[204:205], v9 offset:15360             // 000000009F34: DBC63C00 CC000009
	ds_read_b64_tr_b16 a[206:207], v9 offset:15616             // 000000009F3C: DBC63D00 CE000009
	s_waitcnt lgkmcnt(0)                                       // 000000009F44: BF8CC07F
	v_mfma_f32_16x16x32_bf16 v[114:117], a[144:147], v[34:37], v[114:117]// 000000009F48: D3B50072 0DCA4590
	v_mfma_f32_16x16x32_bf16 v[118:121], a[148:151], v[34:37], v[118:121]// 000000009F50: D3B50076 0DDA4594
	v_mfma_f32_16x16x32_bf16 v[122:125], a[152:155], v[34:37], v[122:125]// 000000009F58: D3B5007A 0DEA4598
	v_mfma_f32_16x16x32_bf16 v[126:129], a[156:159], v[34:37], v[126:129]// 000000009F60: D3B5007E 0DFA459C
	v_mfma_f32_16x16x32_bf16 v[130:133], a[160:163], v[34:37], v[130:133]// 000000009F68: D3B50082 0E0A45A0
	v_mfma_f32_16x16x32_bf16 v[134:137], a[164:167], v[34:37], v[134:137]// 000000009F70: D3B50086 0E1A45A4
	v_mfma_f32_16x16x32_bf16 v[138:141], a[168:171], v[34:37], v[138:141]// 000000009F78: D3B5008A 0E2A45A8
	v_mfma_f32_16x16x32_bf16 v[142:145], a[172:175], v[34:37], v[142:145]// 000000009F80: D3B5008E 0E3A45AC
	v_mfma_f32_16x16x32_bf16 v[146:149], a[176:179], v[34:37], v[146:149]// 000000009F88: D3B50092 0E4A45B0
	v_mfma_f32_16x16x32_bf16 v[150:153], a[180:183], v[34:37], v[150:153]// 000000009F90: D3B50096 0E5A45B4
	v_mfma_f32_16x16x32_bf16 v[154:157], a[184:187], v[34:37], v[154:157]// 000000009F98: D3B5009A 0E6A45B8
	v_mfma_f32_16x16x32_bf16 v[158:161], a[188:191], v[34:37], v[158:161]// 000000009FA0: D3B5009E 0E7A45BC
	v_mfma_f32_16x16x32_bf16 v[162:165], a[192:195], v[34:37], v[162:165]// 000000009FA8: D3B500A2 0E8A45C0
	v_mfma_f32_16x16x32_bf16 v[166:169], a[196:199], v[34:37], v[166:169]// 000000009FB0: D3B500A6 0E9A45C4
	v_mfma_f32_16x16x32_bf16 v[170:173], a[200:203], v[34:37], v[170:173]// 000000009FB8: D3B500AA 0EAA45C8
	v_mfma_f32_16x16x32_bf16 v[174:177], a[204:207], v[34:37], v[174:177]// 000000009FC0: D3B500AE 0EBA45CC
	ds_read_b64_tr_b16 a[144:145], v10                         // 000000009FC8: DBC60000 9000000A
	ds_read_b64_tr_b16 a[146:147], v10 offset:256              // 000000009FD0: DBC60100 9200000A
	ds_read_b64_tr_b16 a[148:149], v11                         // 000000009FD8: DBC60000 9400000B
	ds_read_b64_tr_b16 a[150:151], v11 offset:256              // 000000009FE0: DBC60100 9600000B
	ds_read_b64_tr_b16 a[152:153], v10 offset:1024             // 000000009FE8: DBC60400 9800000A
	ds_read_b64_tr_b16 a[154:155], v10 offset:1280             // 000000009FF0: DBC60500 9A00000A
	ds_read_b64_tr_b16 a[156:157], v11 offset:1024             // 000000009FF8: DBC60400 9C00000B
	ds_read_b64_tr_b16 a[158:159], v11 offset:1280             // 00000000A000: DBC60500 9E00000B
	ds_read_b64_tr_b16 a[160:161], v10 offset:2048             // 00000000A008: DBC60800 A000000A
	ds_read_b64_tr_b16 a[162:163], v10 offset:2304             // 00000000A010: DBC60900 A200000A
	ds_read_b64_tr_b16 a[164:165], v11 offset:2048             // 00000000A018: DBC60800 A400000B
	ds_read_b64_tr_b16 a[166:167], v11 offset:2304             // 00000000A020: DBC60900 A600000B
	ds_read_b64_tr_b16 a[168:169], v10 offset:3072             // 00000000A028: DBC60C00 A800000A
	ds_read_b64_tr_b16 a[170:171], v10 offset:3328             // 00000000A030: DBC60D00 AA00000A
	ds_read_b64_tr_b16 a[172:173], v11 offset:3072             // 00000000A038: DBC60C00 AC00000B
	ds_read_b64_tr_b16 a[174:175], v11 offset:3328             // 00000000A040: DBC60D00 AE00000B
	ds_read_b64_tr_b16 a[176:177], v10 offset:4096             // 00000000A048: DBC61000 B000000A
	ds_read_b64_tr_b16 a[178:179], v10 offset:4352             // 00000000A050: DBC61100 B200000A
	ds_read_b64_tr_b16 a[180:181], v11 offset:4096             // 00000000A058: DBC61000 B400000B
	ds_read_b64_tr_b16 a[182:183], v11 offset:4352             // 00000000A060: DBC61100 B600000B
	ds_read_b64_tr_b16 a[184:185], v10 offset:5120             // 00000000A068: DBC61400 B800000A
	ds_read_b64_tr_b16 a[186:187], v10 offset:5376             // 00000000A070: DBC61500 BA00000A
	ds_read_b64_tr_b16 a[188:189], v11 offset:5120             // 00000000A078: DBC61400 BC00000B
	ds_read_b64_tr_b16 a[190:191], v11 offset:5376             // 00000000A080: DBC61500 BE00000B
	ds_read_b64_tr_b16 a[192:193], v10 offset:6144             // 00000000A088: DBC61800 C000000A
	ds_read_b64_tr_b16 a[194:195], v10 offset:6400             // 00000000A090: DBC61900 C200000A
	ds_read_b64_tr_b16 a[196:197], v11 offset:6144             // 00000000A098: DBC61800 C400000B
	ds_read_b64_tr_b16 a[198:199], v11 offset:6400             // 00000000A0A0: DBC61900 C600000B
	ds_read_b64_tr_b16 a[200:201], v10 offset:7168             // 00000000A0A8: DBC61C00 C800000A
	ds_read_b64_tr_b16 a[202:203], v10 offset:7424             // 00000000A0B0: DBC61D00 CA00000A
	ds_read_b64_tr_b16 a[204:205], v11 offset:7168             // 00000000A0B8: DBC61C00 CC00000B
	ds_read_b64_tr_b16 a[206:207], v11 offset:7424             // 00000000A0C0: DBC61D00 CE00000B
	v_mov_b32_e32 v30, v16                                     // 00000000A0C8: 7E3C0310
	v_mov_b32_e32 v31, v16                                     // 00000000A0CC: 7E3E0310
	v_pk_mul_f32 v[50:51], v[30:31], v[50:51]                  // 00000000A0D0: D3B14032 1802651E
	v_pk_mul_f32 v[52:53], v[30:31], v[52:53]                  // 00000000A0D8: D3B14034 1802691E
	v_pk_mul_f32 v[54:55], v[30:31], v[54:55]                  // 00000000A0E0: D3B14036 18026D1E
	v_pk_mul_f32 v[56:57], v[30:31], v[56:57]                  // 00000000A0E8: D3B14038 1802711E
	v_pk_mul_f32 v[58:59], v[30:31], v[58:59]                  // 00000000A0F0: D3B1403A 1802751E
	v_pk_mul_f32 v[60:61], v[30:31], v[60:61]                  // 00000000A0F8: D3B1403C 1802791E
	v_pk_mul_f32 v[62:63], v[30:31], v[62:63]                  // 00000000A100: D3B1403E 18027D1E
	v_pk_mul_f32 v[64:65], v[30:31], v[64:65]                  // 00000000A108: D3B14040 1802811E
	v_pk_mul_f32 v[66:67], v[30:31], v[66:67]                  // 00000000A110: D3B14042 1802851E
	v_pk_mul_f32 v[68:69], v[30:31], v[68:69]                  // 00000000A118: D3B14044 1802891E
	v_pk_mul_f32 v[70:71], v[30:31], v[70:71]                  // 00000000A120: D3B14046 18028D1E
	v_pk_mul_f32 v[72:73], v[30:31], v[72:73]                  // 00000000A128: D3B14048 1802911E
	v_pk_mul_f32 v[74:75], v[30:31], v[74:75]                  // 00000000A130: D3B1404A 1802951E
	v_pk_mul_f32 v[76:77], v[30:31], v[76:77]                  // 00000000A138: D3B1404C 1802991E
	v_pk_mul_f32 v[78:79], v[30:31], v[78:79]                  // 00000000A140: D3B1404E 18029D1E
	v_pk_mul_f32 v[80:81], v[30:31], v[80:81]                  // 00000000A148: D3B14050 1802A11E
	v_pk_mul_f32 v[82:83], v[30:31], v[82:83]                  // 00000000A150: D3B14052 1802A51E
	v_pk_mul_f32 v[84:85], v[30:31], v[84:85]                  // 00000000A158: D3B14054 1802A91E
	v_pk_mul_f32 v[86:87], v[30:31], v[86:87]                  // 00000000A160: D3B14056 1802AD1E
	v_pk_mul_f32 v[88:89], v[30:31], v[88:89]                  // 00000000A168: D3B14058 1802B11E
	v_pk_mul_f32 v[90:91], v[30:31], v[90:91]                  // 00000000A170: D3B1405A 1802B51E
	v_pk_mul_f32 v[92:93], v[30:31], v[92:93]                  // 00000000A178: D3B1405C 1802B91E
	v_pk_mul_f32 v[94:95], v[30:31], v[94:95]                  // 00000000A180: D3B1405E 1802BD1E
	v_pk_mul_f32 v[96:97], v[30:31], v[96:97]                  // 00000000A188: D3B14060 1802C11E
	v_pk_mul_f32 v[98:99], v[30:31], v[98:99]                  // 00000000A190: D3B14062 1802C51E
	v_pk_mul_f32 v[100:101], v[30:31], v[100:101]              // 00000000A198: D3B14064 1802C91E
	v_pk_mul_f32 v[102:103], v[30:31], v[102:103]              // 00000000A1A0: D3B14066 1802CD1E
	v_pk_mul_f32 v[104:105], v[30:31], v[104:105]              // 00000000A1A8: D3B14068 1802D11E
	v_pk_mul_f32 v[106:107], v[30:31], v[106:107]              // 00000000A1B0: D3B1406A 1802D51E
	v_pk_mul_f32 v[108:109], v[30:31], v[108:109]              // 00000000A1B8: D3B1406C 1802D91E
	v_pk_mul_f32 v[110:111], v[30:31], v[110:111]              // 00000000A1C0: D3B1406E 1802DD1E
	v_pk_mul_f32 v[112:113], v[30:31], v[112:113]              // 00000000A1C8: D3B14070 1802E11E
	v_pk_mul_f32 v[114:115], v[30:31], v[114:115]              // 00000000A1D0: D3B14072 1802E51E
	v_pk_mul_f32 v[116:117], v[30:31], v[116:117]              // 00000000A1D8: D3B14074 1802E91E
	v_pk_mul_f32 v[118:119], v[30:31], v[118:119]              // 00000000A1E0: D3B14076 1802ED1E
	v_pk_mul_f32 v[120:121], v[30:31], v[120:121]              // 00000000A1E8: D3B14078 1802F11E
	v_pk_mul_f32 v[122:123], v[30:31], v[122:123]              // 00000000A1F0: D3B1407A 1802F51E
	v_pk_mul_f32 v[124:125], v[30:31], v[124:125]              // 00000000A1F8: D3B1407C 1802F91E
	v_pk_mul_f32 v[126:127], v[30:31], v[126:127]              // 00000000A200: D3B1407E 1802FD1E
	v_pk_mul_f32 v[128:129], v[30:31], v[128:129]              // 00000000A208: D3B14080 1803011E
	v_pk_mul_f32 v[130:131], v[30:31], v[130:131]              // 00000000A210: D3B14082 1803051E
	v_pk_mul_f32 v[132:133], v[30:31], v[132:133]              // 00000000A218: D3B14084 1803091E
	v_pk_mul_f32 v[134:135], v[30:31], v[134:135]              // 00000000A220: D3B14086 18030D1E
	v_pk_mul_f32 v[136:137], v[30:31], v[136:137]              // 00000000A228: D3B14088 1803111E
	v_pk_mul_f32 v[138:139], v[30:31], v[138:139]              // 00000000A230: D3B1408A 1803151E
	v_pk_mul_f32 v[140:141], v[30:31], v[140:141]              // 00000000A238: D3B1408C 1803191E
	v_pk_mul_f32 v[142:143], v[30:31], v[142:143]              // 00000000A240: D3B1408E 18031D1E
	v_pk_mul_f32 v[144:145], v[30:31], v[144:145]              // 00000000A248: D3B14090 1803211E
	v_pk_mul_f32 v[146:147], v[30:31], v[146:147]              // 00000000A250: D3B14092 1803251E
	v_pk_mul_f32 v[148:149], v[30:31], v[148:149]              // 00000000A258: D3B14094 1803291E
	v_pk_mul_f32 v[150:151], v[30:31], v[150:151]              // 00000000A260: D3B14096 18032D1E
	v_pk_mul_f32 v[152:153], v[30:31], v[152:153]              // 00000000A268: D3B14098 1803311E
	v_pk_mul_f32 v[154:155], v[30:31], v[154:155]              // 00000000A270: D3B1409A 1803351E
	v_pk_mul_f32 v[156:157], v[30:31], v[156:157]              // 00000000A278: D3B1409C 1803391E
	v_pk_mul_f32 v[158:159], v[30:31], v[158:159]              // 00000000A280: D3B1409E 18033D1E
	v_pk_mul_f32 v[160:161], v[30:31], v[160:161]              // 00000000A288: D3B140A0 1803411E
	v_pk_mul_f32 v[162:163], v[30:31], v[162:163]              // 00000000A290: D3B140A2 1803451E
	v_pk_mul_f32 v[164:165], v[30:31], v[164:165]              // 00000000A298: D3B140A4 1803491E
	v_pk_mul_f32 v[166:167], v[30:31], v[166:167]              // 00000000A2A0: D3B140A6 18034D1E
	v_pk_mul_f32 v[168:169], v[30:31], v[168:169]              // 00000000A2A8: D3B140A8 1803511E
	v_pk_mul_f32 v[170:171], v[30:31], v[170:171]              // 00000000A2B0: D3B140AA 1803551E
	v_pk_mul_f32 v[172:173], v[30:31], v[172:173]              // 00000000A2B8: D3B140AC 1803591E
	v_pk_mul_f32 v[174:175], v[30:31], v[174:175]              // 00000000A2C0: D3B140AE 18035D1E
	v_pk_mul_f32 v[176:177], v[30:31], v[176:177]              // 00000000A2C8: D3B140B0 1803611E
	s_waitcnt lgkmcnt(4)                                       // 00000000A2D0: BF8CC47F
	v_mfma_f32_16x16x32_bf16 v[50:53], a[144:147], v[42:45], v[50:53]// 00000000A2D4: D3B50032 0CCA5590
	v_mfma_f32_16x16x32_bf16 v[54:57], a[148:151], v[42:45], v[54:57]// 00000000A2DC: D3B50036 0CDA5594
	v_mfma_f32_16x16x32_bf16 v[58:61], a[152:155], v[42:45], v[58:61]// 00000000A2E4: D3B5003A 0CEA5598
	v_mfma_f32_16x16x32_bf16 v[62:65], a[156:159], v[42:45], v[62:65]// 00000000A2EC: D3B5003E 0CFA559C
	v_mfma_f32_16x16x32_bf16 v[66:69], a[160:163], v[42:45], v[66:69]// 00000000A2F4: D3B50042 0D0A55A0
	v_mfma_f32_16x16x32_bf16 v[70:73], a[164:167], v[42:45], v[70:73]// 00000000A2FC: D3B50046 0D1A55A4
	v_mfma_f32_16x16x32_bf16 v[74:77], a[168:171], v[42:45], v[74:77]// 00000000A304: D3B5004A 0D2A55A8
	v_mfma_f32_16x16x32_bf16 v[78:81], a[172:175], v[42:45], v[78:81]// 00000000A30C: D3B5004E 0D3A55AC
	v_mfma_f32_16x16x32_bf16 v[82:85], a[176:179], v[42:45], v[82:85]// 00000000A314: D3B50052 0D4A55B0
	v_mfma_f32_16x16x32_bf16 v[86:89], a[180:183], v[42:45], v[86:89]// 00000000A31C: D3B50056 0D5A55B4
	v_mfma_f32_16x16x32_bf16 v[90:93], a[184:187], v[42:45], v[90:93]// 00000000A324: D3B5005A 0D6A55B8
	v_mfma_f32_16x16x32_bf16 v[94:97], a[188:191], v[42:45], v[94:97]// 00000000A32C: D3B5005E 0D7A55BC
	v_mfma_f32_16x16x32_bf16 v[98:101], a[192:195], v[42:45], v[98:101]// 00000000A334: D3B50062 0D8A55C0
	v_mfma_f32_16x16x32_bf16 v[102:105], a[196:199], v[42:45], v[102:105]// 00000000A33C: D3B50066 0D9A55C4
	v_mfma_f32_16x16x32_bf16 v[106:109], a[200:203], v[42:45], v[106:109]// 00000000A344: D3B5006A 0DAA55C8
	v_mfma_f32_16x16x32_bf16 v[110:113], a[204:207], v[42:45], v[110:113]// 00000000A34C: D3B5006E 0DBA55CC
	ds_read_b64_tr_b16 a[144:145], v10 offset:8192             // 00000000A354: DBC62000 9000000A
	ds_read_b64_tr_b16 a[146:147], v10 offset:8448             // 00000000A35C: DBC62100 9200000A
	ds_read_b64_tr_b16 a[148:149], v11 offset:8192             // 00000000A364: DBC62000 9400000B
	ds_read_b64_tr_b16 a[150:151], v11 offset:8448             // 00000000A36C: DBC62100 9600000B
	ds_read_b64_tr_b16 a[152:153], v10 offset:9216             // 00000000A374: DBC62400 9800000A
	ds_read_b64_tr_b16 a[154:155], v10 offset:9472             // 00000000A37C: DBC62500 9A00000A
	ds_read_b64_tr_b16 a[156:157], v11 offset:9216             // 00000000A384: DBC62400 9C00000B
	ds_read_b64_tr_b16 a[158:159], v11 offset:9472             // 00000000A38C: DBC62500 9E00000B
	ds_read_b64_tr_b16 a[160:161], v10 offset:10240            // 00000000A394: DBC62800 A000000A
	ds_read_b64_tr_b16 a[162:163], v10 offset:10496            // 00000000A39C: DBC62900 A200000A
	ds_read_b64_tr_b16 a[164:165], v11 offset:10240            // 00000000A3A4: DBC62800 A400000B
	ds_read_b64_tr_b16 a[166:167], v11 offset:10496            // 00000000A3AC: DBC62900 A600000B
	ds_read_b64_tr_b16 a[168:169], v10 offset:11264            // 00000000A3B4: DBC62C00 A800000A
	ds_read_b64_tr_b16 a[170:171], v10 offset:11520            // 00000000A3BC: DBC62D00 AA00000A
	ds_read_b64_tr_b16 a[172:173], v11 offset:11264            // 00000000A3C4: DBC62C00 AC00000B
	ds_read_b64_tr_b16 a[174:175], v11 offset:11520            // 00000000A3CC: DBC62D00 AE00000B
	ds_read_b64_tr_b16 a[176:177], v10 offset:12288            // 00000000A3D4: DBC63000 B000000A
	ds_read_b64_tr_b16 a[178:179], v10 offset:12544            // 00000000A3DC: DBC63100 B200000A
	ds_read_b64_tr_b16 a[180:181], v11 offset:12288            // 00000000A3E4: DBC63000 B400000B
	ds_read_b64_tr_b16 a[182:183], v11 offset:12544            // 00000000A3EC: DBC63100 B600000B
	ds_read_b64_tr_b16 a[184:185], v10 offset:13312            // 00000000A3F4: DBC63400 B800000A
	ds_read_b64_tr_b16 a[186:187], v10 offset:13568            // 00000000A3FC: DBC63500 BA00000A
	ds_read_b64_tr_b16 a[188:189], v11 offset:13312            // 00000000A404: DBC63400 BC00000B
	ds_read_b64_tr_b16 a[190:191], v11 offset:13568            // 00000000A40C: DBC63500 BE00000B
	ds_read_b64_tr_b16 a[192:193], v10 offset:14336            // 00000000A414: DBC63800 C000000A
	ds_read_b64_tr_b16 a[194:195], v10 offset:14592            // 00000000A41C: DBC63900 C200000A
	ds_read_b64_tr_b16 a[196:197], v11 offset:14336            // 00000000A424: DBC63800 C400000B
	ds_read_b64_tr_b16 a[198:199], v11 offset:14592            // 00000000A42C: DBC63900 C600000B
	ds_read_b64_tr_b16 a[200:201], v10 offset:15360            // 00000000A434: DBC63C00 C800000A
	ds_read_b64_tr_b16 a[202:203], v10 offset:15616            // 00000000A43C: DBC63D00 CA00000A
	ds_read_b64_tr_b16 a[204:205], v11 offset:15360            // 00000000A444: DBC63C00 CC00000B
	ds_read_b64_tr_b16 a[206:207], v11 offset:15616            // 00000000A44C: DBC63D00 CE00000B
	s_waitcnt vmcnt(0)                                         // 00000000A454: BF8C0F70
	s_barrier                                                  // 00000000A458: BF8A0000
	s_waitcnt lgkmcnt(0)                                       // 00000000A45C: BF8CC07F
	v_mfma_f32_16x16x32_bf16 v[114:117], a[144:147], v[42:45], v[114:117]// 00000000A460: D3B50072 0DCA5590
	ds_read_b128 a[72:75], v20                                 // 00000000A468: DBFE0000 48000014
	ds_read_b128 a[76:79], v20 offset:1024                     // 00000000A470: DBFE0400 4C000014
	v_mfma_f32_16x16x32_bf16 v[118:121], a[148:151], v[42:45], v[118:121]// 00000000A478: D3B50076 0DDA5594
	ds_read_b128 a[80:83], v20 offset:2048                     // 00000000A480: DBFE0800 50000014
	ds_read_b128 a[84:87], v20 offset:3072                     // 00000000A488: DBFE0C00 54000014
	v_mfma_f32_16x16x32_bf16 v[122:125], a[152:155], v[42:45], v[122:125]// 00000000A490: D3B5007A 0DEA5598
	ds_read_b128 a[88:91], v20 offset:4096                     // 00000000A498: DBFE1000 58000014
	ds_read_b128 a[92:95], v20 offset:5120                     // 00000000A4A0: DBFE1400 5C000014
	v_mfma_f32_16x16x32_bf16 v[126:129], a[156:159], v[42:45], v[126:129]// 00000000A4A8: D3B5007E 0DFA559C
	ds_read_b128 a[96:99], v20 offset:6144                     // 00000000A4B0: DBFE1800 60000014
	ds_read_b128 a[100:103], v20 offset:7168                   // 00000000A4B8: DBFE1C00 64000014
	v_mfma_f32_16x16x32_bf16 v[130:133], a[160:163], v[42:45], v[130:133]// 00000000A4C0: D3B50082 0E0A55A0
	ds_read_b128 a[104:107], v20 offset:8192                   // 00000000A4C8: DBFE2000 68000014
	ds_read_b128 a[108:111], v20 offset:9216                   // 00000000A4D0: DBFE2400 6C000014
	v_mfma_f32_16x16x32_bf16 v[134:137], a[164:167], v[42:45], v[134:137]// 00000000A4D8: D3B50086 0E1A55A4
	ds_read_b128 a[112:115], v20 offset:10240                  // 00000000A4E0: DBFE2800 70000014
	ds_read_b128 a[116:119], v20 offset:11264                  // 00000000A4E8: DBFE2C00 74000014
	v_mfma_f32_16x16x32_bf16 v[138:141], a[168:171], v[42:45], v[138:141]// 00000000A4F0: D3B5008A 0E2A55A8
	ds_read_b128 a[120:123], v20 offset:12288                  // 00000000A4F8: DBFE3000 78000014
	ds_read_b128 a[124:127], v20 offset:13312                  // 00000000A500: DBFE3400 7C000014
	v_mfma_f32_16x16x32_bf16 v[142:145], a[172:175], v[42:45], v[142:145]// 00000000A508: D3B5008E 0E3A55AC
	ds_read_b128 a[128:131], v20 offset:14336                  // 00000000A510: DBFE3800 80000014
	ds_read_b128 a[132:135], v20 offset:15360                  // 00000000A518: DBFE3C00 84000014
	v_mfma_f32_16x16x32_bf16 v[146:149], a[176:179], v[42:45], v[146:149]// 00000000A520: D3B50092 0E4A55B0
	ds_read_b128 a[136:139], v20 offset:16384                  // 00000000A528: DBFE4000 88000014
	ds_read_b128 a[140:143], v20 offset:17408                  // 00000000A530: DBFE4400 8C000014
	v_mfma_f32_16x16x32_bf16 v[150:153], a[180:183], v[42:45], v[150:153]// 00000000A538: D3B50096 0E5A55B4
	v_mfma_f32_16x16x32_bf16 v[154:157], a[184:187], v[42:45], v[154:157]// 00000000A540: D3B5009A 0E6A55B8
	v_mfma_f32_16x16x32_bf16 v[158:161], a[188:191], v[42:45], v[158:161]// 00000000A548: D3B5009E 0E7A55BC
	v_mfma_f32_16x16x32_bf16 v[162:165], a[192:195], v[42:45], v[162:165]// 00000000A550: D3B500A2 0E8A55C0
	v_mfma_f32_16x16x32_bf16 v[166:169], a[196:199], v[42:45], v[166:169]// 00000000A558: D3B500A6 0E9A55C4
	v_mfma_f32_16x16x32_bf16 v[170:173], a[200:203], v[42:45], v[170:173]// 00000000A560: D3B500AA 0EAA55C8
	v_mfma_f32_16x16x32_bf16 v[174:177], a[204:207], v[42:45], v[174:177]// 00000000A568: D3B500AE 0EBA55CC
	s_branch label_8C94                                        // 00000000A570: BF820288

000000000000a574 <label_8274>:
	s_sub_u32 s56, s71, 2                                      // 00000000A574: 80B88247
	s_mul_i32 s56, s84, s56                                    // 00000000A578: 92383854
	s_add_u32 s83, s56, s83                                    // 00000000A57C: 80535338
	s_cmp_le_i32 s83, s82                                      // 00000000A580: BF055253
	s_cbranch_scc1 label_8390                                  // 00000000A584: BF850042
	v_mov_b32_e32 v28, s82                                     // 00000000A588: 7E380252
	s_cmp_eq_i32 s81, 1                                        // 00000000A58C: BF008151
	s_cbranch_scc1 label_82AC                                  // 00000000A590: BF850006
	s_cmp_eq_i32 s81, 2                                        // 00000000A594: BF008251
	s_cbranch_scc1 label_82A4                                  // 00000000A598: BF850002
	v_add_u32_e32 v28, s7, v28                                 // 00000000A59C: 68383807
	s_branch label_82AC                                        // 00000000A5A0: BF820002

000000000000a5a4 <label_82A4>:
	s_lshr_b32 s56, s7, 1                                      // 00000000A5A4: 8F388107
	v_add_u32_e32 v28, s56, v28                                // 00000000A5A8: 68383838

000000000000a5ac <label_82AC>:
	s_sub_u32 s56, s83, 31                                     // 00000000A5AC: 80B89F53
	v_lshrrev_b32_e32 v18, 4, v0                               // 00000000A5B0: 20240084
	v_mul_i32_i24_e32 v18, 4, v18                              // 00000000A5B4: 0C242484
	v_add_u32_e32 v18, s56, v18                                // 00000000A5B8: 68242438
	v_add_u32_e32 v19, 1, v18                                  // 00000000A5BC: 68262481
	v_add_u32_e32 v20, 2, v18                                  // 00000000A5C0: 68282482
	v_add_u32_e32 v21, 3, v18                                  // 00000000A5C4: 682A2483
	v_mov_b32_e32 v29, 0xff800000                              // 00000000A5C8: 7E3A02FF FF800000
	v_cmp_le_u32_e64 s[36:37], v18, v28                        // 00000000A5D0: D0CB0024 00023912
	v_add_u32_e32 v18, 16, v18                                 // 00000000A5D8: 68242490
	s_nop 0                                                    // 00000000A5DC: BF800000
	v_cndmask_b32_e64 v34, v29, v34, s[36:37]                  // 00000000A5E0: D1000022 0092451D
	v_cmp_le_u32_e64 s[36:37], v19, v28                        // 00000000A5E8: D0CB0024 00023913
	v_add_u32_e32 v19, 16, v19                                 // 00000000A5F0: 68262690
	s_nop 0                                                    // 00000000A5F4: BF800000
	v_cndmask_b32_e64 v35, v29, v35, s[36:37]                  // 00000000A5F8: D1000023 0092471D
	v_cmp_le_u32_e64 s[36:37], v20, v28                        // 00000000A600: D0CB0024 00023914
	v_add_u32_e32 v20, 16, v20                                 // 00000000A608: 68282890
	s_nop 0                                                    // 00000000A60C: BF800000
	v_cndmask_b32_e64 v36, v29, v36, s[36:37]                  // 00000000A610: D1000024 0092491D
	v_cmp_le_u32_e64 s[36:37], v21, v28                        // 00000000A618: D0CB0024 00023915
	v_add_u32_e32 v21, 16, v21                                 // 00000000A620: 682A2A90
	s_nop 0                                                    // 00000000A624: BF800000
	v_cndmask_b32_e64 v37, v29, v37, s[36:37]                  // 00000000A628: D1000025 00924B1D
	v_cmp_le_u32_e64 s[36:37], v18, v28                        // 00000000A630: D0CB0024 00023912
	v_add_u32_e32 v18, 16, v18                                 // 00000000A638: 68242490
	s_nop 0                                                    // 00000000A63C: BF800000
	v_cndmask_b32_e64 v38, v29, v38, s[36:37]                  // 00000000A640: D1000026 00924D1D
	v_cmp_le_u32_e64 s[36:37], v19, v28                        // 00000000A648: D0CB0024 00023913
	v_add_u32_e32 v19, 16, v19                                 // 00000000A650: 68262690
	s_nop 0                                                    // 00000000A654: BF800000
	v_cndmask_b32_e64 v39, v29, v39, s[36:37]                  // 00000000A658: D1000027 00924F1D
	v_cmp_le_u32_e64 s[36:37], v20, v28                        // 00000000A660: D0CB0024 00023914
	v_add_u32_e32 v20, 16, v20                                 // 00000000A668: 68282890
	s_nop 0                                                    // 00000000A66C: BF800000
	v_cndmask_b32_e64 v40, v29, v40, s[36:37]                  // 00000000A670: D1000028 0092511D
	v_cmp_le_u32_e64 s[36:37], v21, v28                        // 00000000A678: D0CB0024 00023915
	v_add_u32_e32 v21, 16, v21                                 // 00000000A680: 682A2A90
	s_nop 0                                                    // 00000000A684: BF800000
	v_cndmask_b32_e64 v41, v29, v41, s[36:37]                  // 00000000A688: D1000029 0092531D

000000000000a690 <label_8390>:
	s_add_u32 s83, s84, s83                                    // 00000000A690: 80535354
	s_nop 2                                                    // 00000000A694: BF800002
	v_mov_b32_e32 v29, v34                                     // 00000000A698: 7E3A0322
	v_max3_f32 v29, v34, v35, v29                              // 00000000A69C: D1D3001D 04764722
	v_max3_f32 v29, v36, v37, v29                              // 00000000A6A4: D1D3001D 04764B24
	v_max3_f32 v29, v38, v39, v29                              // 00000000A6AC: D1D3001D 04764F26
	v_max3_f32 v29, v40, v41, v29                              // 00000000A6B4: D1D3001D 04765328
	v_mov_b32_e32 v28, v29                                     // 00000000A6BC: 7E38031D
	v_mov_b32_e32 v29, v29                                     // 00000000A6C0: 7E3A031D
	s_nop 1                                                    // 00000000A6C4: BF800001
	v_permlane16_swap_b32_e32 v28, v29                         // 00000000A6C8: 7E38B31D
	v_mov_b32_e32 v31, v28                                     // 00000000A6CC: 7E3E031C
	v_mov_b32_e32 v30, v29                                     // 00000000A6D0: 7E3C031D
	s_nop 1                                                    // 00000000A6D4: BF800001
	v_permlane32_swap_b32_e32 v28, v29                         // 00000000A6D8: 7E38B51D
	v_permlane32_swap_b32_e32 v30, v31                         // 00000000A6DC: 7E3CB51F
	v_max3_f32 v29, v28, v29, v29                              // 00000000A6E0: D1D3001D 04763B1C
	v_max3_f32 v29, v30, v31, v29                              // 00000000A6E8: D1D3001D 04763F1E
	v_mov_b32_e32 v28, 0xff800000                              // 00000000A6F0: 7E3802FF FF800000
	v_cmp_eq_u32_e64 s[36:37], v28, v2                         // 00000000A6F8: D0CA0024 0002051C
	v_max_f32_e32 v29, v29, v2                                 // 00000000A700: 163A051D
	v_sub_f32_e32 v16, v2, v29                                 // 00000000A704: 04203B02
	v_cndmask_b32_e64 v16, v16, 0, s[36:37]                    // 00000000A708: D1000010 00910110
	v_mov_b32_e32 v2, v29                                      // 00000000A710: 7E04031D
	v_mul_f32_e32 v29, s5, v29                                 // 00000000A714: 0A3A3A05
	v_mul_f32_e32 v16, s5, v16                                 // 00000000A718: 0A202005
	v_exp_f32_e32 v16, v16                                     // 00000000A71C: 7E204110
	v_fma_f32 v34, v34, s5, -v29                               // 00000000A720: D1CB0022 84740B22
	v_fma_f32 v35, v35, s5, -v29                               // 00000000A728: D1CB0023 84740B23
	v_fma_f32 v36, v36, s5, -v29                               // 00000000A730: D1CB0024 84740B24
	v_fma_f32 v37, v37, s5, -v29                               // 00000000A738: D1CB0025 84740B25
	v_fma_f32 v38, v38, s5, -v29                               // 00000000A740: D1CB0026 84740B26
	v_fma_f32 v39, v39, s5, -v29                               // 00000000A748: D1CB0027 84740B27
	v_fma_f32 v40, v40, s5, -v29                               // 00000000A750: D1CB0028 84740B28
	v_fma_f32 v41, v41, s5, -v29                               // 00000000A758: D1CB0029 84740B29
	v_exp_f32_e32 v34, v34                                     // 00000000A760: 7E444122
	v_exp_f32_e32 v35, v35                                     // 00000000A764: 7E464123
	v_exp_f32_e32 v36, v36                                     // 00000000A768: 7E484124
	v_exp_f32_e32 v37, v37                                     // 00000000A76C: 7E4A4125
	v_exp_f32_e32 v38, v38                                     // 00000000A770: 7E4C4126
	v_exp_f32_e32 v39, v39                                     // 00000000A774: 7E4E4127
	v_exp_f32_e32 v40, v40                                     // 00000000A778: 7E504128
	v_exp_f32_e32 v41, v41                                     // 00000000A77C: 7E524129
	v_mul_f32_e32 v4, v16, v4                                  // 00000000A780: 0A080910
	v_mov_b32_e32 v28, v34                                     // 00000000A784: 7E380322
	v_add_f32_e32 v28, v35, v28                                // 00000000A788: 02383923
	v_add_f32_e32 v28, v36, v28                                // 00000000A78C: 02383924
	v_add_f32_e32 v28, v37, v28                                // 00000000A790: 02383925
	v_add_f32_e32 v28, v38, v28                                // 00000000A794: 02383926
	v_add_f32_e32 v28, v39, v28                                // 00000000A798: 02383927
	v_add_f32_e32 v28, v40, v28                                // 00000000A79C: 02383928
	v_add_f32_e32 v28, v41, v28                                // 00000000A7A0: 02383929
	v_add_f32_e32 v4, v28, v4                                  // 00000000A7A4: 0208091C
	v_cvt_pk_bf16_f32 v34, v34, v35                            // 00000000A7A8: D2680022 00024722
	v_cvt_pk_bf16_f32 v35, v36, v37                            // 00000000A7B0: D2680023 00024B24
	v_cvt_pk_bf16_f32 v36, v38, v39                            // 00000000A7B8: D2680024 00024F26
	v_cvt_pk_bf16_f32 v37, v40, v41                            // 00000000A7C0: D2680025 00025328
	s_nop 0                                                    // 00000000A7C8: BF800000
	v_permlane32_swap_b32_e32 v34, v36                         // 00000000A7CC: 7E44B524
	v_permlane32_swap_b32_e32 v35, v37                         // 00000000A7D0: 7E46B525
	s_nop 0                                                    // 00000000A7D4: BF800000
	v_permlane16_swap_b32_e32 v34, v36                         // 00000000A7D8: 7E44B324
	v_permlane16_swap_b32_e32 v35, v37                         // 00000000A7DC: 7E46B325
	s_waitcnt lgkmcnt(4)                                       // 00000000A7E0: BF8CC47F
	v_mfma_f32_16x16x32_bf16 v[50:53], a[144:147], v[42:45], v[50:53]// 00000000A7E4: D3B50032 0CCA5590
	v_mfma_f32_16x16x32_bf16 v[54:57], a[148:151], v[42:45], v[54:57]// 00000000A7EC: D3B50036 0CDA5594
	v_mfma_f32_16x16x32_bf16 v[58:61], a[152:155], v[42:45], v[58:61]// 00000000A7F4: D3B5003A 0CEA5598
	v_mfma_f32_16x16x32_bf16 v[62:65], a[156:159], v[42:45], v[62:65]// 00000000A7FC: D3B5003E 0CFA559C
	v_mfma_f32_16x16x32_bf16 v[66:69], a[160:163], v[42:45], v[66:69]// 00000000A804: D3B50042 0D0A55A0
	v_mfma_f32_16x16x32_bf16 v[70:73], a[164:167], v[42:45], v[70:73]// 00000000A80C: D3B50046 0D1A55A4
	v_mfma_f32_16x16x32_bf16 v[74:77], a[168:171], v[42:45], v[74:77]// 00000000A814: D3B5004A 0D2A55A8
	v_mfma_f32_16x16x32_bf16 v[78:81], a[172:175], v[42:45], v[78:81]// 00000000A81C: D3B5004E 0D3A55AC
	v_mfma_f32_16x16x32_bf16 v[82:85], a[176:179], v[42:45], v[82:85]// 00000000A824: D3B50052 0D4A55B0
	v_mfma_f32_16x16x32_bf16 v[86:89], a[180:183], v[42:45], v[86:89]// 00000000A82C: D3B50056 0D5A55B4
	v_mfma_f32_16x16x32_bf16 v[90:93], a[184:187], v[42:45], v[90:93]// 00000000A834: D3B5005A 0D6A55B8
	v_mfma_f32_16x16x32_bf16 v[94:97], a[188:191], v[42:45], v[94:97]// 00000000A83C: D3B5005E 0D7A55BC
	v_mfma_f32_16x16x32_bf16 v[98:101], a[192:195], v[42:45], v[98:101]// 00000000A844: D3B50062 0D8A55C0
	v_mfma_f32_16x16x32_bf16 v[102:105], a[196:199], v[42:45], v[102:105]// 00000000A84C: D3B50066 0D9A55C4
	v_mfma_f32_16x16x32_bf16 v[106:109], a[200:203], v[42:45], v[106:109]// 00000000A854: D3B5006A 0DAA55C8
	v_mfma_f32_16x16x32_bf16 v[110:113], a[204:207], v[42:45], v[110:113]// 00000000A85C: D3B5006E 0DBA55CC
	ds_read_b64_tr_b16 a[144:145], v10 offset:8192             // 00000000A864: DBC62000 9000000A
	ds_read_b64_tr_b16 a[146:147], v10 offset:8448             // 00000000A86C: DBC62100 9200000A
	ds_read_b64_tr_b16 a[148:149], v11 offset:8192             // 00000000A874: DBC62000 9400000B
	ds_read_b64_tr_b16 a[150:151], v11 offset:8448             // 00000000A87C: DBC62100 9600000B
	ds_read_b64_tr_b16 a[152:153], v10 offset:9216             // 00000000A884: DBC62400 9800000A
	ds_read_b64_tr_b16 a[154:155], v10 offset:9472             // 00000000A88C: DBC62500 9A00000A
	ds_read_b64_tr_b16 a[156:157], v11 offset:9216             // 00000000A894: DBC62400 9C00000B
	ds_read_b64_tr_b16 a[158:159], v11 offset:9472             // 00000000A89C: DBC62500 9E00000B
	ds_read_b64_tr_b16 a[160:161], v10 offset:10240            // 00000000A8A4: DBC62800 A000000A
	ds_read_b64_tr_b16 a[162:163], v10 offset:10496            // 00000000A8AC: DBC62900 A200000A
	ds_read_b64_tr_b16 a[164:165], v11 offset:10240            // 00000000A8B4: DBC62800 A400000B
	ds_read_b64_tr_b16 a[166:167], v11 offset:10496            // 00000000A8BC: DBC62900 A600000B
	ds_read_b64_tr_b16 a[168:169], v10 offset:11264            // 00000000A8C4: DBC62C00 A800000A
	ds_read_b64_tr_b16 a[170:171], v10 offset:11520            // 00000000A8CC: DBC62D00 AA00000A
	ds_read_b64_tr_b16 a[172:173], v11 offset:11264            // 00000000A8D4: DBC62C00 AC00000B
	ds_read_b64_tr_b16 a[174:175], v11 offset:11520            // 00000000A8DC: DBC62D00 AE00000B
	ds_read_b64_tr_b16 a[176:177], v10 offset:12288            // 00000000A8E4: DBC63000 B000000A
	ds_read_b64_tr_b16 a[178:179], v10 offset:12544            // 00000000A8EC: DBC63100 B200000A
	ds_read_b64_tr_b16 a[180:181], v11 offset:12288            // 00000000A8F4: DBC63000 B400000B
	ds_read_b64_tr_b16 a[182:183], v11 offset:12544            // 00000000A8FC: DBC63100 B600000B
	ds_read_b64_tr_b16 a[184:185], v10 offset:13312            // 00000000A904: DBC63400 B800000A
	ds_read_b64_tr_b16 a[186:187], v10 offset:13568            // 00000000A90C: DBC63500 BA00000A
	ds_read_b64_tr_b16 a[188:189], v11 offset:13312            // 00000000A914: DBC63400 BC00000B
	ds_read_b64_tr_b16 a[190:191], v11 offset:13568            // 00000000A91C: DBC63500 BE00000B
	ds_read_b64_tr_b16 a[192:193], v10 offset:14336            // 00000000A924: DBC63800 C000000A
	ds_read_b64_tr_b16 a[194:195], v10 offset:14592            // 00000000A92C: DBC63900 C200000A
	ds_read_b64_tr_b16 a[196:197], v11 offset:14336            // 00000000A934: DBC63800 C400000B
	ds_read_b64_tr_b16 a[198:199], v11 offset:14592            // 00000000A93C: DBC63900 C600000B
	ds_read_b64_tr_b16 a[200:201], v10 offset:15360            // 00000000A944: DBC63C00 C800000A
	ds_read_b64_tr_b16 a[202:203], v10 offset:15616            // 00000000A94C: DBC63D00 CA00000A
	ds_read_b64_tr_b16 a[204:205], v11 offset:15360            // 00000000A954: DBC63C00 CC00000B
	ds_read_b64_tr_b16 a[206:207], v11 offset:15616            // 00000000A95C: DBC63D00 CE00000B
	s_waitcnt lgkmcnt(0)                                       // 00000000A964: BF8CC07F
	v_mfma_f32_16x16x32_bf16 v[114:117], a[144:147], v[42:45], v[114:117]// 00000000A968: D3B50072 0DCA5590
	v_mfma_f32_16x16x32_bf16 v[118:121], a[148:151], v[42:45], v[118:121]// 00000000A970: D3B50076 0DDA5594
	v_mfma_f32_16x16x32_bf16 v[122:125], a[152:155], v[42:45], v[122:125]// 00000000A978: D3B5007A 0DEA5598
	v_mfma_f32_16x16x32_bf16 v[126:129], a[156:159], v[42:45], v[126:129]// 00000000A980: D3B5007E 0DFA559C
	v_mfma_f32_16x16x32_bf16 v[130:133], a[160:163], v[42:45], v[130:133]// 00000000A988: D3B50082 0E0A55A0
	v_mfma_f32_16x16x32_bf16 v[134:137], a[164:167], v[42:45], v[134:137]// 00000000A990: D3B50086 0E1A55A4
	v_mfma_f32_16x16x32_bf16 v[138:141], a[168:171], v[42:45], v[138:141]// 00000000A998: D3B5008A 0E2A55A8
	v_mfma_f32_16x16x32_bf16 v[142:145], a[172:175], v[42:45], v[142:145]// 00000000A9A0: D3B5008E 0E3A55AC
	v_mfma_f32_16x16x32_bf16 v[146:149], a[176:179], v[42:45], v[146:149]// 00000000A9A8: D3B50092 0E4A55B0
	v_mfma_f32_16x16x32_bf16 v[150:153], a[180:183], v[42:45], v[150:153]// 00000000A9B0: D3B50096 0E5A55B4
	v_mfma_f32_16x16x32_bf16 v[154:157], a[184:187], v[42:45], v[154:157]// 00000000A9B8: D3B5009A 0E6A55B8
	v_mfma_f32_16x16x32_bf16 v[158:161], a[188:191], v[42:45], v[158:161]// 00000000A9C0: D3B5009E 0E7A55BC
	v_mfma_f32_16x16x32_bf16 v[162:165], a[192:195], v[42:45], v[162:165]// 00000000A9C8: D3B500A2 0E8A55C0
	v_mfma_f32_16x16x32_bf16 v[166:169], a[196:199], v[42:45], v[166:169]// 00000000A9D0: D3B500A6 0E9A55C4
	v_mfma_f32_16x16x32_bf16 v[170:173], a[200:203], v[42:45], v[170:173]// 00000000A9D8: D3B500AA 0EAA55C8
	v_mfma_f32_16x16x32_bf16 v[174:177], a[204:207], v[42:45], v[174:177]// 00000000A9E0: D3B500AE 0EBA55CC
	ds_read_b64_tr_b16 a[144:145], v12                         // 00000000A9E8: DBC60000 9000000C
	ds_read_b64_tr_b16 a[146:147], v12 offset:256              // 00000000A9F0: DBC60100 9200000C
	ds_read_b64_tr_b16 a[148:149], v13                         // 00000000A9F8: DBC60000 9400000D
	ds_read_b64_tr_b16 a[150:151], v13 offset:256              // 00000000AA00: DBC60100 9600000D
	ds_read_b64_tr_b16 a[152:153], v12 offset:1024             // 00000000AA08: DBC60400 9800000C
	ds_read_b64_tr_b16 a[154:155], v12 offset:1280             // 00000000AA10: DBC60500 9A00000C
	ds_read_b64_tr_b16 a[156:157], v13 offset:1024             // 00000000AA18: DBC60400 9C00000D
	ds_read_b64_tr_b16 a[158:159], v13 offset:1280             // 00000000AA20: DBC60500 9E00000D
	ds_read_b64_tr_b16 a[160:161], v12 offset:2048             // 00000000AA28: DBC60800 A000000C
	ds_read_b64_tr_b16 a[162:163], v12 offset:2304             // 00000000AA30: DBC60900 A200000C
	ds_read_b64_tr_b16 a[164:165], v13 offset:2048             // 00000000AA38: DBC60800 A400000D
	ds_read_b64_tr_b16 a[166:167], v13 offset:2304             // 00000000AA40: DBC60900 A600000D
	ds_read_b64_tr_b16 a[168:169], v12 offset:3072             // 00000000AA48: DBC60C00 A800000C
	ds_read_b64_tr_b16 a[170:171], v12 offset:3328             // 00000000AA50: DBC60D00 AA00000C
	ds_read_b64_tr_b16 a[172:173], v13 offset:3072             // 00000000AA58: DBC60C00 AC00000D
	ds_read_b64_tr_b16 a[174:175], v13 offset:3328             // 00000000AA60: DBC60D00 AE00000D
	ds_read_b64_tr_b16 a[176:177], v12 offset:4096             // 00000000AA68: DBC61000 B000000C
	ds_read_b64_tr_b16 a[178:179], v12 offset:4352             // 00000000AA70: DBC61100 B200000C
	ds_read_b64_tr_b16 a[180:181], v13 offset:4096             // 00000000AA78: DBC61000 B400000D
	ds_read_b64_tr_b16 a[182:183], v13 offset:4352             // 00000000AA80: DBC61100 B600000D
	ds_read_b64_tr_b16 a[184:185], v12 offset:5120             // 00000000AA88: DBC61400 B800000C
	ds_read_b64_tr_b16 a[186:187], v12 offset:5376             // 00000000AA90: DBC61500 BA00000C
	ds_read_b64_tr_b16 a[188:189], v13 offset:5120             // 00000000AA98: DBC61400 BC00000D
	ds_read_b64_tr_b16 a[190:191], v13 offset:5376             // 00000000AAA0: DBC61500 BE00000D
	ds_read_b64_tr_b16 a[192:193], v12 offset:6144             // 00000000AAA8: DBC61800 C000000C
	ds_read_b64_tr_b16 a[194:195], v12 offset:6400             // 00000000AAB0: DBC61900 C200000C
	ds_read_b64_tr_b16 a[196:197], v13 offset:6144             // 00000000AAB8: DBC61800 C400000D
	ds_read_b64_tr_b16 a[198:199], v13 offset:6400             // 00000000AAC0: DBC61900 C600000D
	ds_read_b64_tr_b16 a[200:201], v12 offset:7168             // 00000000AAC8: DBC61C00 C800000C
	ds_read_b64_tr_b16 a[202:203], v12 offset:7424             // 00000000AAD0: DBC61D00 CA00000C
	ds_read_b64_tr_b16 a[204:205], v13 offset:7168             // 00000000AAD8: DBC61C00 CC00000D
	ds_read_b64_tr_b16 a[206:207], v13 offset:7424             // 00000000AAE0: DBC61D00 CE00000D
	v_mov_b32_e32 v30, v16                                     // 00000000AAE8: 7E3C0310
	v_mov_b32_e32 v31, v16                                     // 00000000AAEC: 7E3E0310
	v_pk_mul_f32 v[50:51], v[30:31], v[50:51]                  // 00000000AAF0: D3B14032 1802651E
	v_pk_mul_f32 v[52:53], v[30:31], v[52:53]                  // 00000000AAF8: D3B14034 1802691E
	v_pk_mul_f32 v[54:55], v[30:31], v[54:55]                  // 00000000AB00: D3B14036 18026D1E
	v_pk_mul_f32 v[56:57], v[30:31], v[56:57]                  // 00000000AB08: D3B14038 1802711E
	v_pk_mul_f32 v[58:59], v[30:31], v[58:59]                  // 00000000AB10: D3B1403A 1802751E
	v_pk_mul_f32 v[60:61], v[30:31], v[60:61]                  // 00000000AB18: D3B1403C 1802791E
	v_pk_mul_f32 v[62:63], v[30:31], v[62:63]                  // 00000000AB20: D3B1403E 18027D1E
	v_pk_mul_f32 v[64:65], v[30:31], v[64:65]                  // 00000000AB28: D3B14040 1802811E
	v_pk_mul_f32 v[66:67], v[30:31], v[66:67]                  // 00000000AB30: D3B14042 1802851E
	v_pk_mul_f32 v[68:69], v[30:31], v[68:69]                  // 00000000AB38: D3B14044 1802891E
	v_pk_mul_f32 v[70:71], v[30:31], v[70:71]                  // 00000000AB40: D3B14046 18028D1E
	v_pk_mul_f32 v[72:73], v[30:31], v[72:73]                  // 00000000AB48: D3B14048 1802911E
	v_pk_mul_f32 v[74:75], v[30:31], v[74:75]                  // 00000000AB50: D3B1404A 1802951E
	v_pk_mul_f32 v[76:77], v[30:31], v[76:77]                  // 00000000AB58: D3B1404C 1802991E
	v_pk_mul_f32 v[78:79], v[30:31], v[78:79]                  // 00000000AB60: D3B1404E 18029D1E
	v_pk_mul_f32 v[80:81], v[30:31], v[80:81]                  // 00000000AB68: D3B14050 1802A11E
	v_pk_mul_f32 v[82:83], v[30:31], v[82:83]                  // 00000000AB70: D3B14052 1802A51E
	v_pk_mul_f32 v[84:85], v[30:31], v[84:85]                  // 00000000AB78: D3B14054 1802A91E
	v_pk_mul_f32 v[86:87], v[30:31], v[86:87]                  // 00000000AB80: D3B14056 1802AD1E
	v_pk_mul_f32 v[88:89], v[30:31], v[88:89]                  // 00000000AB88: D3B14058 1802B11E
	v_pk_mul_f32 v[90:91], v[30:31], v[90:91]                  // 00000000AB90: D3B1405A 1802B51E
	v_pk_mul_f32 v[92:93], v[30:31], v[92:93]                  // 00000000AB98: D3B1405C 1802B91E
	v_pk_mul_f32 v[94:95], v[30:31], v[94:95]                  // 00000000ABA0: D3B1405E 1802BD1E
	v_pk_mul_f32 v[96:97], v[30:31], v[96:97]                  // 00000000ABA8: D3B14060 1802C11E
	v_pk_mul_f32 v[98:99], v[30:31], v[98:99]                  // 00000000ABB0: D3B14062 1802C51E
	v_pk_mul_f32 v[100:101], v[30:31], v[100:101]              // 00000000ABB8: D3B14064 1802C91E
	v_pk_mul_f32 v[102:103], v[30:31], v[102:103]              // 00000000ABC0: D3B14066 1802CD1E
	v_pk_mul_f32 v[104:105], v[30:31], v[104:105]              // 00000000ABC8: D3B14068 1802D11E
	v_pk_mul_f32 v[106:107], v[30:31], v[106:107]              // 00000000ABD0: D3B1406A 1802D51E
	v_pk_mul_f32 v[108:109], v[30:31], v[108:109]              // 00000000ABD8: D3B1406C 1802D91E
	v_pk_mul_f32 v[110:111], v[30:31], v[110:111]              // 00000000ABE0: D3B1406E 1802DD1E
	v_pk_mul_f32 v[112:113], v[30:31], v[112:113]              // 00000000ABE8: D3B14070 1802E11E
	v_pk_mul_f32 v[114:115], v[30:31], v[114:115]              // 00000000ABF0: D3B14072 1802E51E
	v_pk_mul_f32 v[116:117], v[30:31], v[116:117]              // 00000000ABF8: D3B14074 1802E91E
	v_pk_mul_f32 v[118:119], v[30:31], v[118:119]              // 00000000AC00: D3B14076 1802ED1E
	v_pk_mul_f32 v[120:121], v[30:31], v[120:121]              // 00000000AC08: D3B14078 1802F11E
	v_pk_mul_f32 v[122:123], v[30:31], v[122:123]              // 00000000AC10: D3B1407A 1802F51E
	v_pk_mul_f32 v[124:125], v[30:31], v[124:125]              // 00000000AC18: D3B1407C 1802F91E
	v_pk_mul_f32 v[126:127], v[30:31], v[126:127]              // 00000000AC20: D3B1407E 1802FD1E
	v_pk_mul_f32 v[128:129], v[30:31], v[128:129]              // 00000000AC28: D3B14080 1803011E
	v_pk_mul_f32 v[130:131], v[30:31], v[130:131]              // 00000000AC30: D3B14082 1803051E
	v_pk_mul_f32 v[132:133], v[30:31], v[132:133]              // 00000000AC38: D3B14084 1803091E
	v_pk_mul_f32 v[134:135], v[30:31], v[134:135]              // 00000000AC40: D3B14086 18030D1E
	v_pk_mul_f32 v[136:137], v[30:31], v[136:137]              // 00000000AC48: D3B14088 1803111E
	v_pk_mul_f32 v[138:139], v[30:31], v[138:139]              // 00000000AC50: D3B1408A 1803151E
	v_pk_mul_f32 v[140:141], v[30:31], v[140:141]              // 00000000AC58: D3B1408C 1803191E
	v_pk_mul_f32 v[142:143], v[30:31], v[142:143]              // 00000000AC60: D3B1408E 18031D1E
	v_pk_mul_f32 v[144:145], v[30:31], v[144:145]              // 00000000AC68: D3B14090 1803211E
	v_pk_mul_f32 v[146:147], v[30:31], v[146:147]              // 00000000AC70: D3B14092 1803251E
	v_pk_mul_f32 v[148:149], v[30:31], v[148:149]              // 00000000AC78: D3B14094 1803291E
	v_pk_mul_f32 v[150:151], v[30:31], v[150:151]              // 00000000AC80: D3B14096 18032D1E
	v_pk_mul_f32 v[152:153], v[30:31], v[152:153]              // 00000000AC88: D3B14098 1803311E
	v_pk_mul_f32 v[154:155], v[30:31], v[154:155]              // 00000000AC90: D3B1409A 1803351E
	v_pk_mul_f32 v[156:157], v[30:31], v[156:157]              // 00000000AC98: D3B1409C 1803391E
	v_pk_mul_f32 v[158:159], v[30:31], v[158:159]              // 00000000ACA0: D3B1409E 18033D1E
	v_pk_mul_f32 v[160:161], v[30:31], v[160:161]              // 00000000ACA8: D3B140A0 1803411E
	v_pk_mul_f32 v[162:163], v[30:31], v[162:163]              // 00000000ACB0: D3B140A2 1803451E
	v_pk_mul_f32 v[164:165], v[30:31], v[164:165]              // 00000000ACB8: D3B140A4 1803491E
	v_pk_mul_f32 v[166:167], v[30:31], v[166:167]              // 00000000ACC0: D3B140A6 18034D1E
	v_pk_mul_f32 v[168:169], v[30:31], v[168:169]              // 00000000ACC8: D3B140A8 1803511E
	v_pk_mul_f32 v[170:171], v[30:31], v[170:171]              // 00000000ACD0: D3B140AA 1803551E
	v_pk_mul_f32 v[172:173], v[30:31], v[172:173]              // 00000000ACD8: D3B140AC 1803591E
	v_pk_mul_f32 v[174:175], v[30:31], v[174:175]              // 00000000ACE0: D3B140AE 18035D1E
	v_pk_mul_f32 v[176:177], v[30:31], v[176:177]              // 00000000ACE8: D3B140B0 1803611E
	s_waitcnt lgkmcnt(4)                                       // 00000000ACF0: BF8CC47F
	v_mfma_f32_16x16x32_bf16 v[50:53], a[144:147], v[34:37], v[50:53]// 00000000ACF4: D3B50032 0CCA4590
	v_mfma_f32_16x16x32_bf16 v[54:57], a[148:151], v[34:37], v[54:57]// 00000000ACFC: D3B50036 0CDA4594
	v_mfma_f32_16x16x32_bf16 v[58:61], a[152:155], v[34:37], v[58:61]// 00000000AD04: D3B5003A 0CEA4598
	v_mfma_f32_16x16x32_bf16 v[62:65], a[156:159], v[34:37], v[62:65]// 00000000AD0C: D3B5003E 0CFA459C
	v_mfma_f32_16x16x32_bf16 v[66:69], a[160:163], v[34:37], v[66:69]// 00000000AD14: D3B50042 0D0A45A0
	v_mfma_f32_16x16x32_bf16 v[70:73], a[164:167], v[34:37], v[70:73]// 00000000AD1C: D3B50046 0D1A45A4
	v_mfma_f32_16x16x32_bf16 v[74:77], a[168:171], v[34:37], v[74:77]// 00000000AD24: D3B5004A 0D2A45A8
	v_mfma_f32_16x16x32_bf16 v[78:81], a[172:175], v[34:37], v[78:81]// 00000000AD2C: D3B5004E 0D3A45AC
	v_mfma_f32_16x16x32_bf16 v[82:85], a[176:179], v[34:37], v[82:85]// 00000000AD34: D3B50052 0D4A45B0
	v_mfma_f32_16x16x32_bf16 v[86:89], a[180:183], v[34:37], v[86:89]// 00000000AD3C: D3B50056 0D5A45B4
	v_mfma_f32_16x16x32_bf16 v[90:93], a[184:187], v[34:37], v[90:93]// 00000000AD44: D3B5005A 0D6A45B8
	v_mfma_f32_16x16x32_bf16 v[94:97], a[188:191], v[34:37], v[94:97]// 00000000AD4C: D3B5005E 0D7A45BC
	v_mfma_f32_16x16x32_bf16 v[98:101], a[192:195], v[34:37], v[98:101]// 00000000AD54: D3B50062 0D8A45C0
	v_mfma_f32_16x16x32_bf16 v[102:105], a[196:199], v[34:37], v[102:105]// 00000000AD5C: D3B50066 0D9A45C4
	v_mfma_f32_16x16x32_bf16 v[106:109], a[200:203], v[34:37], v[106:109]// 00000000AD64: D3B5006A 0DAA45C8
	v_mfma_f32_16x16x32_bf16 v[110:113], a[204:207], v[34:37], v[110:113]// 00000000AD6C: D3B5006E 0DBA45CC
	ds_read_b64_tr_b16 a[144:145], v12 offset:8192             // 00000000AD74: DBC62000 9000000C
	ds_read_b64_tr_b16 a[146:147], v12 offset:8448             // 00000000AD7C: DBC62100 9200000C
	ds_read_b64_tr_b16 a[148:149], v13 offset:8192             // 00000000AD84: DBC62000 9400000D
	ds_read_b64_tr_b16 a[150:151], v13 offset:8448             // 00000000AD8C: DBC62100 9600000D
	ds_read_b64_tr_b16 a[152:153], v12 offset:9216             // 00000000AD94: DBC62400 9800000C
	ds_read_b64_tr_b16 a[154:155], v12 offset:9472             // 00000000AD9C: DBC62500 9A00000C
	ds_read_b64_tr_b16 a[156:157], v13 offset:9216             // 00000000ADA4: DBC62400 9C00000D
	ds_read_b64_tr_b16 a[158:159], v13 offset:9472             // 00000000ADAC: DBC62500 9E00000D
	ds_read_b64_tr_b16 a[160:161], v12 offset:10240            // 00000000ADB4: DBC62800 A000000C
	ds_read_b64_tr_b16 a[162:163], v12 offset:10496            // 00000000ADBC: DBC62900 A200000C
	ds_read_b64_tr_b16 a[164:165], v13 offset:10240            // 00000000ADC4: DBC62800 A400000D
	ds_read_b64_tr_b16 a[166:167], v13 offset:10496            // 00000000ADCC: DBC62900 A600000D
	ds_read_b64_tr_b16 a[168:169], v12 offset:11264            // 00000000ADD4: DBC62C00 A800000C
	ds_read_b64_tr_b16 a[170:171], v12 offset:11520            // 00000000ADDC: DBC62D00 AA00000C
	ds_read_b64_tr_b16 a[172:173], v13 offset:11264            // 00000000ADE4: DBC62C00 AC00000D
	ds_read_b64_tr_b16 a[174:175], v13 offset:11520            // 00000000ADEC: DBC62D00 AE00000D
	ds_read_b64_tr_b16 a[176:177], v12 offset:12288            // 00000000ADF4: DBC63000 B000000C
	ds_read_b64_tr_b16 a[178:179], v12 offset:12544            // 00000000ADFC: DBC63100 B200000C
	ds_read_b64_tr_b16 a[180:181], v13 offset:12288            // 00000000AE04: DBC63000 B400000D
	ds_read_b64_tr_b16 a[182:183], v13 offset:12544            // 00000000AE0C: DBC63100 B600000D
	ds_read_b64_tr_b16 a[184:185], v12 offset:13312            // 00000000AE14: DBC63400 B800000C
	ds_read_b64_tr_b16 a[186:187], v12 offset:13568            // 00000000AE1C: DBC63500 BA00000C
	ds_read_b64_tr_b16 a[188:189], v13 offset:13312            // 00000000AE24: DBC63400 BC00000D
	ds_read_b64_tr_b16 a[190:191], v13 offset:13568            // 00000000AE2C: DBC63500 BE00000D
	ds_read_b64_tr_b16 a[192:193], v12 offset:14336            // 00000000AE34: DBC63800 C000000C
	ds_read_b64_tr_b16 a[194:195], v12 offset:14592            // 00000000AE3C: DBC63900 C200000C
	ds_read_b64_tr_b16 a[196:197], v13 offset:14336            // 00000000AE44: DBC63800 C400000D
	ds_read_b64_tr_b16 a[198:199], v13 offset:14592            // 00000000AE4C: DBC63900 C600000D
	ds_read_b64_tr_b16 a[200:201], v12 offset:15360            // 00000000AE54: DBC63C00 C800000C
	ds_read_b64_tr_b16 a[202:203], v12 offset:15616            // 00000000AE5C: DBC63D00 CA00000C
	ds_read_b64_tr_b16 a[204:205], v13 offset:15360            // 00000000AE64: DBC63C00 CC00000D
	ds_read_b64_tr_b16 a[206:207], v13 offset:15616            // 00000000AE6C: DBC63D00 CE00000D
	s_waitcnt vmcnt(0)                                         // 00000000AE74: BF8C0F70
	s_barrier                                                  // 00000000AE78: BF8A0000
	s_waitcnt lgkmcnt(0)                                       // 00000000AE7C: BF8CC07F
	v_mfma_f32_16x16x32_bf16 v[114:117], a[144:147], v[34:37], v[114:117]// 00000000AE80: D3B50072 0DCA4590
	ds_read_b128 a[72:75], v21                                 // 00000000AE88: DBFE0000 48000015
	ds_read_b128 a[76:79], v21 offset:1024                     // 00000000AE90: DBFE0400 4C000015
	v_mfma_f32_16x16x32_bf16 v[118:121], a[148:151], v[34:37], v[118:121]// 00000000AE98: D3B50076 0DDA4594
	ds_read_b128 a[80:83], v21 offset:2048                     // 00000000AEA0: DBFE0800 50000015
	ds_read_b128 a[84:87], v21 offset:3072                     // 00000000AEA8: DBFE0C00 54000015
	v_mfma_f32_16x16x32_bf16 v[122:125], a[152:155], v[34:37], v[122:125]// 00000000AEB0: D3B5007A 0DEA4598
	ds_read_b128 a[88:91], v21 offset:4096                     // 00000000AEB8: DBFE1000 58000015
	ds_read_b128 a[92:95], v21 offset:5120                     // 00000000AEC0: DBFE1400 5C000015
	v_mfma_f32_16x16x32_bf16 v[126:129], a[156:159], v[34:37], v[126:129]// 00000000AEC8: D3B5007E 0DFA459C
	ds_read_b128 a[96:99], v21 offset:6144                     // 00000000AED0: DBFE1800 60000015
	ds_read_b128 a[100:103], v21 offset:7168                   // 00000000AED8: DBFE1C00 64000015
	v_mfma_f32_16x16x32_bf16 v[130:133], a[160:163], v[34:37], v[130:133]// 00000000AEE0: D3B50082 0E0A45A0
	ds_read_b128 a[104:107], v21 offset:8192                   // 00000000AEE8: DBFE2000 68000015
	ds_read_b128 a[108:111], v21 offset:9216                   // 00000000AEF0: DBFE2400 6C000015
	v_mfma_f32_16x16x32_bf16 v[134:137], a[164:167], v[34:37], v[134:137]// 00000000AEF8: D3B50086 0E1A45A4
	ds_read_b128 a[112:115], v21 offset:10240                  // 00000000AF00: DBFE2800 70000015
	ds_read_b128 a[116:119], v21 offset:11264                  // 00000000AF08: DBFE2C00 74000015
	v_mfma_f32_16x16x32_bf16 v[138:141], a[168:171], v[34:37], v[138:141]// 00000000AF10: D3B5008A 0E2A45A8
	ds_read_b128 a[120:123], v21 offset:12288                  // 00000000AF18: DBFE3000 78000015
	ds_read_b128 a[124:127], v21 offset:13312                  // 00000000AF20: DBFE3400 7C000015
	v_mfma_f32_16x16x32_bf16 v[142:145], a[172:175], v[34:37], v[142:145]// 00000000AF28: D3B5008E 0E3A45AC
	ds_read_b128 a[128:131], v21 offset:14336                  // 00000000AF30: DBFE3800 80000015
	ds_read_b128 a[132:135], v21 offset:15360                  // 00000000AF38: DBFE3C00 84000015
	v_mfma_f32_16x16x32_bf16 v[146:149], a[176:179], v[34:37], v[146:149]// 00000000AF40: D3B50092 0E4A45B0
	ds_read_b128 a[136:139], v21 offset:16384                  // 00000000AF48: DBFE4000 88000015
	ds_read_b128 a[140:143], v21 offset:17408                  // 00000000AF50: DBFE4400 8C000015
	v_mfma_f32_16x16x32_bf16 v[150:153], a[180:183], v[34:37], v[150:153]// 00000000AF58: D3B50096 0E5A45B4
	v_mfma_f32_16x16x32_bf16 v[154:157], a[184:187], v[34:37], v[154:157]// 00000000AF60: D3B5009A 0E6A45B8
	v_mfma_f32_16x16x32_bf16 v[158:161], a[188:191], v[34:37], v[158:161]// 00000000AF68: D3B5009E 0E7A45BC
	v_mfma_f32_16x16x32_bf16 v[162:165], a[192:195], v[34:37], v[162:165]// 00000000AF70: D3B500A2 0E8A45C0
	v_mfma_f32_16x16x32_bf16 v[166:169], a[196:199], v[34:37], v[166:169]// 00000000AF78: D3B500A6 0E9A45C4
	v_mfma_f32_16x16x32_bf16 v[170:173], a[200:203], v[34:37], v[170:173]// 00000000AF80: D3B500AA 0EAA45C8
	v_mfma_f32_16x16x32_bf16 v[174:177], a[204:207], v[34:37], v[174:177]// 00000000AF88: D3B500AE 0EBA45CC
	s_branch label_8C94                                        // 00000000AF90: BF820000

000000000000af94 <label_8C94>:
	s_cmp_eq_i32 s48, 0                                        // 00000000AF94: BF008030
	s_cbranch_scc1 label_B738                                  // 00000000AF98: BF850A25

000000000000af9c <label_8C9C>:
	s_and_b32 s56, 3, s71                                      // 00000000AF9C: 86384783
	s_cmp_eq_i32 s56, 0                                        // 00000000AFA0: BF008038
	s_cbranch_scc1 label_A0F8                                  // 00000000AFA4: BF850514
	s_cmp_eq_i32 s56, 1                                        // 00000000AFA8: BF008138
	s_cbranch_scc1 label_AB14                                  // 00000000AFAC: BF850799
	s_cmp_eq_i32 s56, 3                                        // 00000000AFB0: BF008338
	s_cbranch_scc1 label_96DC                                  // 00000000AFB4: BF850289
	s_cmp_eq_i32 s56, 2                                        // 00000000AFB8: BF008238
	s_cbranch_scc1 label_8CC0                                  // 00000000AFBC: BF850000

000000000000afc0 <label_8CC0>:
	s_waitcnt lgkmcnt(0)                                       // 00000000AFC0: BF8CC07F
	v_mfma_f32_16x16x32_bf16 v[34:37], a[72:75], a[0:3], 0     // 00000000AFC4: D3B50022 1A020148
	v_mfma_f32_16x16x32_bf16 v[34:37], a[76:79], a[4:7], v[34:37]// 00000000AFCC: D3B50022 1C8A094C
	v_mfma_f32_16x16x32_bf16 v[34:37], a[80:83], a[8:11], v[34:37]// 00000000AFD4: D3B50022 1C8A1150
	v_mfma_f32_16x16x32_bf16 v[34:37], a[84:87], a[12:15], v[34:37]// 00000000AFDC: D3B50022 1C8A1954
	v_mfma_f32_16x16x32_bf16 v[34:37], a[88:91], a[16:19], v[34:37]// 00000000AFE4: D3B50022 1C8A2158
	v_mfma_f32_16x16x32_bf16 v[34:37], a[92:95], a[20:23], v[34:37]// 00000000AFEC: D3B50022 1C8A295C
	v_mfma_f32_16x16x32_bf16 v[34:37], a[96:99], a[24:27], v[34:37]// 00000000AFF4: D3B50022 1C8A3160
	v_mfma_f32_16x16x32_bf16 v[34:37], a[100:103], a[28:31], v[34:37]// 00000000AFFC: D3B50022 1C8A3964
	ds_read_b128 a[72:75], v18 offset:18432                    // 00000000B004: DBFE4800 48000012
	ds_read_b128 a[76:79], v18 offset:19456                    // 00000000B00C: DBFE4C00 4C000012
	v_mfma_f32_16x16x32_bf16 v[34:37], a[104:107], a[32:35], v[34:37]// 00000000B014: D3B50022 1C8A4168
	v_mfma_f32_16x16x32_bf16 v[34:37], a[108:111], a[36:39], v[34:37]// 00000000B01C: D3B50022 1C8A496C
	ds_read_b128 a[80:83], v18 offset:20480                    // 00000000B024: DBFE5000 50000012
	ds_read_b128 a[84:87], v18 offset:21504                    // 00000000B02C: DBFE5400 54000012
	v_mfma_f32_16x16x32_bf16 v[34:37], a[112:115], a[40:43], v[34:37]// 00000000B034: D3B50022 1C8A5170
	v_mfma_f32_16x16x32_bf16 v[34:37], a[116:119], a[44:47], v[34:37]// 00000000B03C: D3B50022 1C8A5974
	ds_read_b128 a[88:91], v18 offset:22528                    // 00000000B044: DBFE5800 58000012
	ds_read_b128 a[92:95], v18 offset:23552                    // 00000000B04C: DBFE5C00 5C000012
	v_mfma_f32_16x16x32_bf16 v[34:37], a[120:123], a[48:51], v[34:37]// 00000000B054: D3B50022 1C8A6178
	v_mfma_f32_16x16x32_bf16 v[34:37], a[124:127], a[52:55], v[34:37]// 00000000B05C: D3B50022 1C8A697C
	ds_read_b128 a[96:99], v18 offset:24576                    // 00000000B064: DBFE6000 60000012
	ds_read_b128 a[100:103], v18 offset:25600                  // 00000000B06C: DBFE6400 64000012
	v_mfma_f32_16x16x32_bf16 v[34:37], a[128:131], a[56:59], v[34:37]// 00000000B074: D3B50022 1C8A7180
	v_mfma_f32_16x16x32_bf16 v[34:37], a[132:135], a[60:63], v[34:37]// 00000000B07C: D3B50022 1C8A7984
	ds_read_b128 a[104:107], v18 offset:26624                  // 00000000B084: DBFE6800 68000012
	ds_read_b128 a[108:111], v18 offset:27648                  // 00000000B08C: DBFE6C00 6C000012
	v_mfma_f32_16x16x32_bf16 v[34:37], a[136:139], a[64:67], v[34:37]// 00000000B094: D3B50022 1C8A8188
	v_mfma_f32_16x16x32_bf16 v[34:37], a[140:143], a[68:71], v[34:37]// 00000000B09C: D3B50022 1C8A898C
	ds_read_b128 a[112:115], v18 offset:28672                  // 00000000B0A4: DBFE7000 70000012
	ds_read_b128 a[116:119], v18 offset:29696                  // 00000000B0AC: DBFE7400 74000012
	ds_read_b128 a[120:123], v18 offset:30720                  // 00000000B0B4: DBFE7800 78000012
	ds_read_b128 a[124:127], v18 offset:31744                  // 00000000B0BC: DBFE7C00 7C000012
	ds_read_b128 a[128:131], v18 offset:32768                  // 00000000B0C4: DBFE8000 80000012
	ds_read_b128 a[132:135], v18 offset:33792                  // 00000000B0CC: DBFE8400 84000012
	ds_read_b128 a[136:139], v18 offset:34816                  // 00000000B0D4: DBFE8800 88000012
	ds_read_b128 a[140:143], v18 offset:35840                  // 00000000B0DC: DBFE8C00 8C000012
	s_waitcnt lgkmcnt(0)                                       // 00000000B0E4: BF8CC07F
	v_mfma_f32_16x16x32_bf16 v[38:41], a[72:75], a[0:3], 0     // 00000000B0E8: D3B50026 1A020148
	ds_read_b64_tr_b16 a[144:145], v8                          // 00000000B0F0: DBC60000 90000008
	ds_read_b64_tr_b16 a[146:147], v8 offset:256               // 00000000B0F8: DBC60100 92000008
	ds_read_b64_tr_b16 a[148:149], v9                          // 00000000B100: DBC60000 94000009
	ds_read_b64_tr_b16 a[150:151], v9 offset:256               // 00000000B108: DBC60100 96000009
	v_mfma_f32_16x16x32_bf16 v[38:41], a[76:79], a[4:7], v[38:41]// 00000000B110: D3B50026 1C9A094C
	ds_read_b64_tr_b16 a[152:153], v8 offset:1024              // 00000000B118: DBC60400 98000008
	ds_read_b64_tr_b16 a[154:155], v8 offset:1280              // 00000000B120: DBC60500 9A000008
	ds_read_b64_tr_b16 a[156:157], v9 offset:1024              // 00000000B128: DBC60400 9C000009
	ds_read_b64_tr_b16 a[158:159], v9 offset:1280              // 00000000B130: DBC60500 9E000009
	v_mfma_f32_16x16x32_bf16 v[38:41], a[80:83], a[8:11], v[38:41]// 00000000B138: D3B50026 1C9A1150
	ds_read_b64_tr_b16 a[160:161], v8 offset:2048              // 00000000B140: DBC60800 A0000008
	ds_read_b64_tr_b16 a[162:163], v8 offset:2304              // 00000000B148: DBC60900 A2000008
	ds_read_b64_tr_b16 a[164:165], v9 offset:2048              // 00000000B150: DBC60800 A4000009
	ds_read_b64_tr_b16 a[166:167], v9 offset:2304              // 00000000B158: DBC60900 A6000009
	v_mfma_f32_16x16x32_bf16 v[38:41], a[84:87], a[12:15], v[38:41]// 00000000B160: D3B50026 1C9A1954
	ds_read_b64_tr_b16 a[168:169], v8 offset:3072              // 00000000B168: DBC60C00 A8000008
	ds_read_b64_tr_b16 a[170:171], v8 offset:3328              // 00000000B170: DBC60D00 AA000008
	ds_read_b64_tr_b16 a[172:173], v9 offset:3072              // 00000000B178: DBC60C00 AC000009
	ds_read_b64_tr_b16 a[174:175], v9 offset:3328              // 00000000B180: DBC60D00 AE000009
	v_mfma_f32_16x16x32_bf16 v[38:41], a[88:91], a[16:19], v[38:41]// 00000000B188: D3B50026 1C9A2158
	ds_read_b64_tr_b16 a[176:177], v8 offset:4096              // 00000000B190: DBC61000 B0000008
	ds_read_b64_tr_b16 a[178:179], v8 offset:4352              // 00000000B198: DBC61100 B2000008
	ds_read_b64_tr_b16 a[180:181], v9 offset:4096              // 00000000B1A0: DBC61000 B4000009
	ds_read_b64_tr_b16 a[182:183], v9 offset:4352              // 00000000B1A8: DBC61100 B6000009
	v_mfma_f32_16x16x32_bf16 v[38:41], a[92:95], a[20:23], v[38:41]// 00000000B1B0: D3B50026 1C9A295C
	ds_read_b64_tr_b16 a[184:185], v8 offset:5120              // 00000000B1B8: DBC61400 B8000008
	ds_read_b64_tr_b16 a[186:187], v8 offset:5376              // 00000000B1C0: DBC61500 BA000008
	ds_read_b64_tr_b16 a[188:189], v9 offset:5120              // 00000000B1C8: DBC61400 BC000009
	ds_read_b64_tr_b16 a[190:191], v9 offset:5376              // 00000000B1D0: DBC61500 BE000009
	v_mfma_f32_16x16x32_bf16 v[38:41], a[96:99], a[24:27], v[38:41]// 00000000B1D8: D3B50026 1C9A3160
	ds_read_b64_tr_b16 a[192:193], v8 offset:6144              // 00000000B1E0: DBC61800 C0000008
	ds_read_b64_tr_b16 a[194:195], v8 offset:6400              // 00000000B1E8: DBC61900 C2000008
	ds_read_b64_tr_b16 a[196:197], v9 offset:6144              // 00000000B1F0: DBC61800 C4000009
	ds_read_b64_tr_b16 a[198:199], v9 offset:6400              // 00000000B1F8: DBC61900 C6000009
	v_mfma_f32_16x16x32_bf16 v[38:41], a[100:103], a[28:31], v[38:41]// 00000000B200: D3B50026 1C9A3964
	ds_read_b64_tr_b16 a[200:201], v8 offset:7168              // 00000000B208: DBC61C00 C8000008
	ds_read_b64_tr_b16 a[202:203], v8 offset:7424              // 00000000B210: DBC61D00 CA000008
	ds_read_b64_tr_b16 a[204:205], v9 offset:7168              // 00000000B218: DBC61C00 CC000009
	ds_read_b64_tr_b16 a[206:207], v9 offset:7424              // 00000000B220: DBC61D00 CE000009
	v_mfma_f32_16x16x32_bf16 v[38:41], a[104:107], a[32:35], v[38:41]// 00000000B228: D3B50026 1C9A4168
	v_mfma_f32_16x16x32_bf16 v[38:41], a[108:111], a[36:39], v[38:41]// 00000000B230: D3B50026 1C9A496C
	v_mfma_f32_16x16x32_bf16 v[38:41], a[112:115], a[40:43], v[38:41]// 00000000B238: D3B50026 1C9A5170
	v_mfma_f32_16x16x32_bf16 v[38:41], a[116:119], a[44:47], v[38:41]// 00000000B240: D3B50026 1C9A5974
	v_mfma_f32_16x16x32_bf16 v[38:41], a[120:123], a[48:51], v[38:41]// 00000000B248: D3B50026 1C9A6178
	v_mfma_f32_16x16x32_bf16 v[38:41], a[124:127], a[52:55], v[38:41]// 00000000B250: D3B50026 1C9A697C
	v_mfma_f32_16x16x32_bf16 v[38:41], a[128:131], a[56:59], v[38:41]// 00000000B258: D3B50026 1C9A7180
	v_mfma_f32_16x16x32_bf16 v[38:41], a[132:135], a[60:63], v[38:41]// 00000000B260: D3B50026 1C9A7984
	v_mfma_f32_16x16x32_bf16 v[38:41], a[136:139], a[64:67], v[38:41]// 00000000B268: D3B50026 1C9A8188
	v_mfma_f32_16x16x32_bf16 v[38:41], a[140:143], a[68:71], v[38:41]// 00000000B270: D3B50026 1C9A898C
	s_nop 8                                                    // 00000000B278: BF800008
	s_and_b32 s56, s48, 0xff                                   // 00000000B27C: 8638FF30 000000FF
	v_mov_b32_e32 v29, s56                                     // 00000000B284: 7E3A0238
	v_lshrrev_b32_e32 v18, 4, v0                               // 00000000B288: 20240084
	v_mul_i32_i24_e32 v18, 4, v18                              // 00000000B28C: 0C242484
	v_add_u32_e32 v19, 1, v18                                  // 00000000B290: 68262481
	v_add_u32_e32 v20, 2, v18                                  // 00000000B294: 68282482
	v_add_u32_e32 v21, 3, v18                                  // 00000000B298: 682A2483
	v_mov_b32_e32 v28, 0xff800000                              // 00000000B29C: 7E3802FF FF800000
	v_cmp_lt_u32_e64 s[36:37], v18, v29                        // 00000000B2A4: D0C90024 00023B12
	v_add_u32_e32 v18, 16, v18                                 // 00000000B2AC: 68242490
	s_nop 0                                                    // 00000000B2B0: BF800000
	v_cndmask_b32_e64 v34, v28, v34, s[36:37]                  // 00000000B2B4: D1000022 0092451C
	v_cmp_lt_u32_e64 s[36:37], v19, v29                        // 00000000B2BC: D0C90024 00023B13
	v_add_u32_e32 v19, 16, v19                                 // 00000000B2C4: 68262690
	s_nop 0                                                    // 00000000B2C8: BF800000
	v_cndmask_b32_e64 v35, v28, v35, s[36:37]                  // 00000000B2CC: D1000023 0092471C
	v_cmp_lt_u32_e64 s[36:37], v20, v29                        // 00000000B2D4: D0C90024 00023B14
	v_add_u32_e32 v20, 16, v20                                 // 00000000B2DC: 68282890
	s_nop 0                                                    // 00000000B2E0: BF800000
	v_cndmask_b32_e64 v36, v28, v36, s[36:37]                  // 00000000B2E4: D1000024 0092491C
	v_cmp_lt_u32_e64 s[36:37], v21, v29                        // 00000000B2EC: D0C90024 00023B15
	v_add_u32_e32 v21, 16, v21                                 // 00000000B2F4: 682A2A90
	s_nop 0                                                    // 00000000B2F8: BF800000
	v_cndmask_b32_e64 v37, v28, v37, s[36:37]                  // 00000000B2FC: D1000025 00924B1C
	v_cmp_lt_u32_e64 s[36:37], v18, v29                        // 00000000B304: D0C90024 00023B12
	v_add_u32_e32 v18, 16, v18                                 // 00000000B30C: 68242490
	s_nop 0                                                    // 00000000B310: BF800000
	v_cndmask_b32_e64 v38, v28, v38, s[36:37]                  // 00000000B314: D1000026 00924D1C
	v_cmp_lt_u32_e64 s[36:37], v19, v29                        // 00000000B31C: D0C90024 00023B13
	v_add_u32_e32 v19, 16, v19                                 // 00000000B324: 68262690
	s_nop 0                                                    // 00000000B328: BF800000
	v_cndmask_b32_e64 v39, v28, v39, s[36:37]                  // 00000000B32C: D1000027 00924F1C
	v_cmp_lt_u32_e64 s[36:37], v20, v29                        // 00000000B334: D0C90024 00023B14
	v_add_u32_e32 v20, 16, v20                                 // 00000000B33C: 68282890
	s_nop 0                                                    // 00000000B340: BF800000
	v_cndmask_b32_e64 v40, v28, v40, s[36:37]                  // 00000000B344: D1000028 0092511C
	v_cmp_lt_u32_e64 s[36:37], v21, v29                        // 00000000B34C: D0C90024 00023B15
	v_add_u32_e32 v21, 16, v21                                 // 00000000B354: 682A2A90
	s_nop 0                                                    // 00000000B358: BF800000
	v_cndmask_b32_e64 v41, v28, v41, s[36:37]                  // 00000000B35C: D1000029 0092531C
	s_cmp_le_i32 s83, s82                                      // 00000000B364: BF055253
	s_cbranch_scc1 label_9174                                  // 00000000B368: BF850042
	v_mov_b32_e32 v28, s82                                     // 00000000B36C: 7E380252
	s_cmp_eq_i32 s81, 1                                        // 00000000B370: BF008151
	s_cbranch_scc1 label_9090                                  // 00000000B374: BF850006
	s_cmp_eq_i32 s81, 2                                        // 00000000B378: BF008251
	s_cbranch_scc1 label_9088                                  // 00000000B37C: BF850002
	v_add_u32_e32 v28, s7, v28                                 // 00000000B380: 68383807
	s_branch label_9090                                        // 00000000B384: BF820002

000000000000b388 <label_9088>:
	s_lshr_b32 s56, s7, 1                                      // 00000000B388: 8F388107
	v_add_u32_e32 v28, s56, v28                                // 00000000B38C: 68383838

000000000000b390 <label_9090>:
	s_sub_u32 s56, s83, 31                                     // 00000000B390: 80B89F53
	v_lshrrev_b32_e32 v18, 4, v0                               // 00000000B394: 20240084
	v_mul_i32_i24_e32 v18, 4, v18                              // 00000000B398: 0C242484
	v_add_u32_e32 v18, s56, v18                                // 00000000B39C: 68242438
	v_add_u32_e32 v19, 1, v18                                  // 00000000B3A0: 68262481
	v_add_u32_e32 v20, 2, v18                                  // 00000000B3A4: 68282482
	v_add_u32_e32 v21, 3, v18                                  // 00000000B3A8: 682A2483
	v_mov_b32_e32 v29, 0xff800000                              // 00000000B3AC: 7E3A02FF FF800000
	v_cmp_le_u32_e64 s[36:37], v18, v28                        // 00000000B3B4: D0CB0024 00023912
	v_add_u32_e32 v18, 16, v18                                 // 00000000B3BC: 68242490
	s_nop 0                                                    // 00000000B3C0: BF800000
	v_cndmask_b32_e64 v34, v29, v34, s[36:37]                  // 00000000B3C4: D1000022 0092451D
	v_cmp_le_u32_e64 s[36:37], v19, v28                        // 00000000B3CC: D0CB0024 00023913
	v_add_u32_e32 v19, 16, v19                                 // 00000000B3D4: 68262690
	s_nop 0                                                    // 00000000B3D8: BF800000
	v_cndmask_b32_e64 v35, v29, v35, s[36:37]                  // 00000000B3DC: D1000023 0092471D
	v_cmp_le_u32_e64 s[36:37], v20, v28                        // 00000000B3E4: D0CB0024 00023914
	v_add_u32_e32 v20, 16, v20                                 // 00000000B3EC: 68282890
	s_nop 0                                                    // 00000000B3F0: BF800000
	v_cndmask_b32_e64 v36, v29, v36, s[36:37]                  // 00000000B3F4: D1000024 0092491D
	v_cmp_le_u32_e64 s[36:37], v21, v28                        // 00000000B3FC: D0CB0024 00023915
	v_add_u32_e32 v21, 16, v21                                 // 00000000B404: 682A2A90
	s_nop 0                                                    // 00000000B408: BF800000
	v_cndmask_b32_e64 v37, v29, v37, s[36:37]                  // 00000000B40C: D1000025 00924B1D
	v_cmp_le_u32_e64 s[36:37], v18, v28                        // 00000000B414: D0CB0024 00023912
	v_add_u32_e32 v18, 16, v18                                 // 00000000B41C: 68242490
	s_nop 0                                                    // 00000000B420: BF800000
	v_cndmask_b32_e64 v38, v29, v38, s[36:37]                  // 00000000B424: D1000026 00924D1D
	v_cmp_le_u32_e64 s[36:37], v19, v28                        // 00000000B42C: D0CB0024 00023913
	v_add_u32_e32 v19, 16, v19                                 // 00000000B434: 68262690
	s_nop 0                                                    // 00000000B438: BF800000
	v_cndmask_b32_e64 v39, v29, v39, s[36:37]                  // 00000000B43C: D1000027 00924F1D
	v_cmp_le_u32_e64 s[36:37], v20, v28                        // 00000000B444: D0CB0024 00023914
	v_add_u32_e32 v20, 16, v20                                 // 00000000B44C: 68282890
	s_nop 0                                                    // 00000000B450: BF800000
	v_cndmask_b32_e64 v40, v29, v40, s[36:37]                  // 00000000B454: D1000028 0092511D
	v_cmp_le_u32_e64 s[36:37], v21, v28                        // 00000000B45C: D0CB0024 00023915
	v_add_u32_e32 v21, 16, v21                                 // 00000000B464: 682A2A90
	s_nop 0                                                    // 00000000B468: BF800000
	v_cndmask_b32_e64 v41, v29, v41, s[36:37]                  // 00000000B46C: D1000029 0092531D

000000000000b474 <label_9174>:
	s_add_u32 s83, s84, s83                                    // 00000000B474: 80535354
	s_nop 2                                                    // 00000000B478: BF800002
	v_mov_b32_e32 v29, v34                                     // 00000000B47C: 7E3A0322
	v_max3_f32 v29, v34, v35, v29                              // 00000000B480: D1D3001D 04764722
	v_max3_f32 v29, v36, v37, v29                              // 00000000B488: D1D3001D 04764B24
	v_max3_f32 v29, v38, v39, v29                              // 00000000B490: D1D3001D 04764F26
	v_max3_f32 v29, v40, v41, v29                              // 00000000B498: D1D3001D 04765328
	v_mov_b32_e32 v28, v29                                     // 00000000B4A0: 7E38031D
	v_mov_b32_e32 v29, v29                                     // 00000000B4A4: 7E3A031D
	s_nop 1                                                    // 00000000B4A8: BF800001
	v_permlane16_swap_b32_e32 v28, v29                         // 00000000B4AC: 7E38B31D
	v_mov_b32_e32 v31, v28                                     // 00000000B4B0: 7E3E031C
	v_mov_b32_e32 v30, v29                                     // 00000000B4B4: 7E3C031D
	s_nop 1                                                    // 00000000B4B8: BF800001
	v_permlane32_swap_b32_e32 v28, v29                         // 00000000B4BC: 7E38B51D
	v_permlane32_swap_b32_e32 v30, v31                         // 00000000B4C0: 7E3CB51F
	v_max3_f32 v29, v28, v29, v29                              // 00000000B4C4: D1D3001D 04763B1C
	v_max3_f32 v29, v30, v31, v29                              // 00000000B4CC: D1D3001D 04763F1E
	v_mov_b32_e32 v28, 0xff800000                              // 00000000B4D4: 7E3802FF FF800000
	v_cmp_eq_u32_e64 s[36:37], v28, v2                         // 00000000B4DC: D0CA0024 0002051C
	v_max_f32_e32 v29, v29, v2                                 // 00000000B4E4: 163A051D
	v_sub_f32_e32 v16, v2, v29                                 // 00000000B4E8: 04203B02
	v_cndmask_b32_e64 v16, v16, 0, s[36:37]                    // 00000000B4EC: D1000010 00910110
	v_mov_b32_e32 v2, v29                                      // 00000000B4F4: 7E04031D
	v_mul_f32_e32 v29, s5, v29                                 // 00000000B4F8: 0A3A3A05
	v_mul_f32_e32 v16, s5, v16                                 // 00000000B4FC: 0A202005
	v_exp_f32_e32 v16, v16                                     // 00000000B500: 7E204110
	v_fma_f32 v34, v34, s5, -v29                               // 00000000B504: D1CB0022 84740B22
	v_fma_f32 v35, v35, s5, -v29                               // 00000000B50C: D1CB0023 84740B23
	v_fma_f32 v36, v36, s5, -v29                               // 00000000B514: D1CB0024 84740B24
	v_fma_f32 v37, v37, s5, -v29                               // 00000000B51C: D1CB0025 84740B25
	v_fma_f32 v38, v38, s5, -v29                               // 00000000B524: D1CB0026 84740B26
	v_fma_f32 v39, v39, s5, -v29                               // 00000000B52C: D1CB0027 84740B27
	v_fma_f32 v40, v40, s5, -v29                               // 00000000B534: D1CB0028 84740B28
	v_fma_f32 v41, v41, s5, -v29                               // 00000000B53C: D1CB0029 84740B29
	v_exp_f32_e32 v34, v34                                     // 00000000B544: 7E444122
	v_exp_f32_e32 v35, v35                                     // 00000000B548: 7E464123
	v_exp_f32_e32 v36, v36                                     // 00000000B54C: 7E484124
	v_exp_f32_e32 v37, v37                                     // 00000000B550: 7E4A4125
	v_exp_f32_e32 v38, v38                                     // 00000000B554: 7E4C4126
	v_exp_f32_e32 v39, v39                                     // 00000000B558: 7E4E4127
	v_exp_f32_e32 v40, v40                                     // 00000000B55C: 7E504128
	v_exp_f32_e32 v41, v41                                     // 00000000B560: 7E524129
	v_mul_f32_e32 v4, v16, v4                                  // 00000000B564: 0A080910
	v_mov_b32_e32 v28, v34                                     // 00000000B568: 7E380322
	v_add_f32_e32 v28, v35, v28                                // 00000000B56C: 02383923
	v_add_f32_e32 v28, v36, v28                                // 00000000B570: 02383924
	v_add_f32_e32 v28, v37, v28                                // 00000000B574: 02383925
	v_add_f32_e32 v28, v38, v28                                // 00000000B578: 02383926
	v_add_f32_e32 v28, v39, v28                                // 00000000B57C: 02383927
	v_add_f32_e32 v28, v40, v28                                // 00000000B580: 02383928
	v_add_f32_e32 v28, v41, v28                                // 00000000B584: 02383929
	v_add_f32_e32 v4, v28, v4                                  // 00000000B588: 0208091C
	v_cvt_pk_bf16_f32 v34, v34, v35                            // 00000000B58C: D2680022 00024722
	v_cvt_pk_bf16_f32 v35, v36, v37                            // 00000000B594: D2680023 00024B24
	v_cvt_pk_bf16_f32 v36, v38, v39                            // 00000000B59C: D2680024 00024F26
	v_cvt_pk_bf16_f32 v37, v40, v41                            // 00000000B5A4: D2680025 00025328
	s_nop 0                                                    // 00000000B5AC: BF800000
	v_permlane32_swap_b32_e32 v34, v36                         // 00000000B5B0: 7E44B524
	v_permlane32_swap_b32_e32 v35, v37                         // 00000000B5B4: 7E46B525
	s_nop 0                                                    // 00000000B5B8: BF800000
	v_permlane16_swap_b32_e32 v34, v36                         // 00000000B5BC: 7E44B324
	v_permlane16_swap_b32_e32 v35, v37                         // 00000000B5C0: 7E46B325
	v_mov_b32_e32 v30, v16                                     // 00000000B5C4: 7E3C0310
	v_mov_b32_e32 v31, v16                                     // 00000000B5C8: 7E3E0310
	v_pk_mul_f32 v[50:51], v[30:31], v[50:51]                  // 00000000B5CC: D3B14032 1802651E
	v_pk_mul_f32 v[52:53], v[30:31], v[52:53]                  // 00000000B5D4: D3B14034 1802691E
	v_pk_mul_f32 v[54:55], v[30:31], v[54:55]                  // 00000000B5DC: D3B14036 18026D1E
	v_pk_mul_f32 v[56:57], v[30:31], v[56:57]                  // 00000000B5E4: D3B14038 1802711E
	v_pk_mul_f32 v[58:59], v[30:31], v[58:59]                  // 00000000B5EC: D3B1403A 1802751E
	v_pk_mul_f32 v[60:61], v[30:31], v[60:61]                  // 00000000B5F4: D3B1403C 1802791E
	v_pk_mul_f32 v[62:63], v[30:31], v[62:63]                  // 00000000B5FC: D3B1403E 18027D1E
	v_pk_mul_f32 v[64:65], v[30:31], v[64:65]                  // 00000000B604: D3B14040 1802811E
	v_pk_mul_f32 v[66:67], v[30:31], v[66:67]                  // 00000000B60C: D3B14042 1802851E
	v_pk_mul_f32 v[68:69], v[30:31], v[68:69]                  // 00000000B614: D3B14044 1802891E
	v_pk_mul_f32 v[70:71], v[30:31], v[70:71]                  // 00000000B61C: D3B14046 18028D1E
	v_pk_mul_f32 v[72:73], v[30:31], v[72:73]                  // 00000000B624: D3B14048 1802911E
	v_pk_mul_f32 v[74:75], v[30:31], v[74:75]                  // 00000000B62C: D3B1404A 1802951E
	v_pk_mul_f32 v[76:77], v[30:31], v[76:77]                  // 00000000B634: D3B1404C 1802991E
	v_pk_mul_f32 v[78:79], v[30:31], v[78:79]                  // 00000000B63C: D3B1404E 18029D1E
	v_pk_mul_f32 v[80:81], v[30:31], v[80:81]                  // 00000000B644: D3B14050 1802A11E
	v_pk_mul_f32 v[82:83], v[30:31], v[82:83]                  // 00000000B64C: D3B14052 1802A51E
	v_pk_mul_f32 v[84:85], v[30:31], v[84:85]                  // 00000000B654: D3B14054 1802A91E
	v_pk_mul_f32 v[86:87], v[30:31], v[86:87]                  // 00000000B65C: D3B14056 1802AD1E
	v_pk_mul_f32 v[88:89], v[30:31], v[88:89]                  // 00000000B664: D3B14058 1802B11E
	v_pk_mul_f32 v[90:91], v[30:31], v[90:91]                  // 00000000B66C: D3B1405A 1802B51E
	v_pk_mul_f32 v[92:93], v[30:31], v[92:93]                  // 00000000B674: D3B1405C 1802B91E
	v_pk_mul_f32 v[94:95], v[30:31], v[94:95]                  // 00000000B67C: D3B1405E 1802BD1E
	v_pk_mul_f32 v[96:97], v[30:31], v[96:97]                  // 00000000B684: D3B14060 1802C11E
	v_pk_mul_f32 v[98:99], v[30:31], v[98:99]                  // 00000000B68C: D3B14062 1802C51E
	v_pk_mul_f32 v[100:101], v[30:31], v[100:101]              // 00000000B694: D3B14064 1802C91E
	v_pk_mul_f32 v[102:103], v[30:31], v[102:103]              // 00000000B69C: D3B14066 1802CD1E
	v_pk_mul_f32 v[104:105], v[30:31], v[104:105]              // 00000000B6A4: D3B14068 1802D11E
	v_pk_mul_f32 v[106:107], v[30:31], v[106:107]              // 00000000B6AC: D3B1406A 1802D51E
	v_pk_mul_f32 v[108:109], v[30:31], v[108:109]              // 00000000B6B4: D3B1406C 1802D91E
	v_pk_mul_f32 v[110:111], v[30:31], v[110:111]              // 00000000B6BC: D3B1406E 1802DD1E
	v_pk_mul_f32 v[112:113], v[30:31], v[112:113]              // 00000000B6C4: D3B14070 1802E11E
	v_pk_mul_f32 v[114:115], v[30:31], v[114:115]              // 00000000B6CC: D3B14072 1802E51E
	v_pk_mul_f32 v[116:117], v[30:31], v[116:117]              // 00000000B6D4: D3B14074 1802E91E
	v_pk_mul_f32 v[118:119], v[30:31], v[118:119]              // 00000000B6DC: D3B14076 1802ED1E
	v_pk_mul_f32 v[120:121], v[30:31], v[120:121]              // 00000000B6E4: D3B14078 1802F11E
	v_pk_mul_f32 v[122:123], v[30:31], v[122:123]              // 00000000B6EC: D3B1407A 1802F51E
	v_pk_mul_f32 v[124:125], v[30:31], v[124:125]              // 00000000B6F4: D3B1407C 1802F91E
	v_pk_mul_f32 v[126:127], v[30:31], v[126:127]              // 00000000B6FC: D3B1407E 1802FD1E
	v_pk_mul_f32 v[128:129], v[30:31], v[128:129]              // 00000000B704: D3B14080 1803011E
	v_pk_mul_f32 v[130:131], v[30:31], v[130:131]              // 00000000B70C: D3B14082 1803051E
	v_pk_mul_f32 v[132:133], v[30:31], v[132:133]              // 00000000B714: D3B14084 1803091E
	v_pk_mul_f32 v[134:135], v[30:31], v[134:135]              // 00000000B71C: D3B14086 18030D1E
	v_pk_mul_f32 v[136:137], v[30:31], v[136:137]              // 00000000B724: D3B14088 1803111E
	v_pk_mul_f32 v[138:139], v[30:31], v[138:139]              // 00000000B72C: D3B1408A 1803151E
	v_pk_mul_f32 v[140:141], v[30:31], v[140:141]              // 00000000B734: D3B1408C 1803191E
	v_pk_mul_f32 v[142:143], v[30:31], v[142:143]              // 00000000B73C: D3B1408E 18031D1E
	v_pk_mul_f32 v[144:145], v[30:31], v[144:145]              // 00000000B744: D3B14090 1803211E
	v_pk_mul_f32 v[146:147], v[30:31], v[146:147]              // 00000000B74C: D3B14092 1803251E
	v_pk_mul_f32 v[148:149], v[30:31], v[148:149]              // 00000000B754: D3B14094 1803291E
	v_pk_mul_f32 v[150:151], v[30:31], v[150:151]              // 00000000B75C: D3B14096 18032D1E
	v_pk_mul_f32 v[152:153], v[30:31], v[152:153]              // 00000000B764: D3B14098 1803311E
	v_pk_mul_f32 v[154:155], v[30:31], v[154:155]              // 00000000B76C: D3B1409A 1803351E
	v_pk_mul_f32 v[156:157], v[30:31], v[156:157]              // 00000000B774: D3B1409C 1803391E
	v_pk_mul_f32 v[158:159], v[30:31], v[158:159]              // 00000000B77C: D3B1409E 18033D1E
	v_pk_mul_f32 v[160:161], v[30:31], v[160:161]              // 00000000B784: D3B140A0 1803411E
	v_pk_mul_f32 v[162:163], v[30:31], v[162:163]              // 00000000B78C: D3B140A2 1803451E
	v_pk_mul_f32 v[164:165], v[30:31], v[164:165]              // 00000000B794: D3B140A4 1803491E
	v_pk_mul_f32 v[166:167], v[30:31], v[166:167]              // 00000000B79C: D3B140A6 18034D1E
	v_pk_mul_f32 v[168:169], v[30:31], v[168:169]              // 00000000B7A4: D3B140A8 1803511E
	v_pk_mul_f32 v[170:171], v[30:31], v[170:171]              // 00000000B7AC: D3B140AA 1803551E
	v_pk_mul_f32 v[172:173], v[30:31], v[172:173]              // 00000000B7B4: D3B140AC 1803591E
	v_pk_mul_f32 v[174:175], v[30:31], v[174:175]              // 00000000B7BC: D3B140AE 18035D1E
	v_pk_mul_f32 v[176:177], v[30:31], v[176:177]              // 00000000B7C4: D3B140B0 1803611E
	s_waitcnt lgkmcnt(0)                                       // 00000000B7CC: BF8CC07F
	v_mfma_f32_16x16x32_bf16 v[50:53], a[144:147], v[34:37], v[50:53]// 00000000B7D0: D3B50032 0CCA4590
	v_mfma_f32_16x16x32_bf16 v[54:57], a[148:151], v[34:37], v[54:57]// 00000000B7D8: D3B50036 0CDA4594
	v_mfma_f32_16x16x32_bf16 v[58:61], a[152:155], v[34:37], v[58:61]// 00000000B7E0: D3B5003A 0CEA4598
	v_mfma_f32_16x16x32_bf16 v[62:65], a[156:159], v[34:37], v[62:65]// 00000000B7E8: D3B5003E 0CFA459C
	v_mfma_f32_16x16x32_bf16 v[66:69], a[160:163], v[34:37], v[66:69]// 00000000B7F0: D3B50042 0D0A45A0
	v_mfma_f32_16x16x32_bf16 v[70:73], a[164:167], v[34:37], v[70:73]// 00000000B7F8: D3B50046 0D1A45A4
	v_mfma_f32_16x16x32_bf16 v[74:77], a[168:171], v[34:37], v[74:77]// 00000000B800: D3B5004A 0D2A45A8
	v_mfma_f32_16x16x32_bf16 v[78:81], a[172:175], v[34:37], v[78:81]// 00000000B808: D3B5004E 0D3A45AC
	v_mfma_f32_16x16x32_bf16 v[82:85], a[176:179], v[34:37], v[82:85]// 00000000B810: D3B50052 0D4A45B0
	v_mfma_f32_16x16x32_bf16 v[86:89], a[180:183], v[34:37], v[86:89]// 00000000B818: D3B50056 0D5A45B4
	v_mfma_f32_16x16x32_bf16 v[90:93], a[184:187], v[34:37], v[90:93]// 00000000B820: D3B5005A 0D6A45B8
	ds_read_b64_tr_b16 a[144:145], v8 offset:8192              // 00000000B828: DBC62000 90000008
	ds_read_b64_tr_b16 a[146:147], v8 offset:8448              // 00000000B830: DBC62100 92000008
	ds_read_b64_tr_b16 a[148:149], v9 offset:8192              // 00000000B838: DBC62000 94000009
	ds_read_b64_tr_b16 a[150:151], v9 offset:8448              // 00000000B840: DBC62100 96000009
	v_mfma_f32_16x16x32_bf16 v[94:97], a[188:191], v[34:37], v[94:97]// 00000000B848: D3B5005E 0D7A45BC
	ds_read_b64_tr_b16 a[152:153], v8 offset:9216              // 00000000B850: DBC62400 98000008
	ds_read_b64_tr_b16 a[154:155], v8 offset:9472              // 00000000B858: DBC62500 9A000008
	ds_read_b64_tr_b16 a[156:157], v9 offset:9216              // 00000000B860: DBC62400 9C000009
	ds_read_b64_tr_b16 a[158:159], v9 offset:9472              // 00000000B868: DBC62500 9E000009
	v_mfma_f32_16x16x32_bf16 v[98:101], a[192:195], v[34:37], v[98:101]// 00000000B870: D3B50062 0D8A45C0
	ds_read_b64_tr_b16 a[160:161], v8 offset:10240             // 00000000B878: DBC62800 A0000008
	ds_read_b64_tr_b16 a[162:163], v8 offset:10496             // 00000000B880: DBC62900 A2000008
	ds_read_b64_tr_b16 a[164:165], v9 offset:10240             // 00000000B888: DBC62800 A4000009
	ds_read_b64_tr_b16 a[166:167], v9 offset:10496             // 00000000B890: DBC62900 A6000009
	v_mfma_f32_16x16x32_bf16 v[102:105], a[196:199], v[34:37], v[102:105]// 00000000B898: D3B50066 0D9A45C4
	ds_read_b64_tr_b16 a[168:169], v8 offset:11264             // 00000000B8A0: DBC62C00 A8000008
	ds_read_b64_tr_b16 a[170:171], v8 offset:11520             // 00000000B8A8: DBC62D00 AA000008
	ds_read_b64_tr_b16 a[172:173], v9 offset:11264             // 00000000B8B0: DBC62C00 AC000009
	ds_read_b64_tr_b16 a[174:175], v9 offset:11520             // 00000000B8B8: DBC62D00 AE000009
	v_mfma_f32_16x16x32_bf16 v[106:109], a[200:203], v[34:37], v[106:109]// 00000000B8C0: D3B5006A 0DAA45C8
	ds_read_b64_tr_b16 a[176:177], v8 offset:12288             // 00000000B8C8: DBC63000 B0000008
	ds_read_b64_tr_b16 a[178:179], v8 offset:12544             // 00000000B8D0: DBC63100 B2000008
	ds_read_b64_tr_b16 a[180:181], v9 offset:12288             // 00000000B8D8: DBC63000 B4000009
	ds_read_b64_tr_b16 a[182:183], v9 offset:12544             // 00000000B8E0: DBC63100 B6000009
	v_mfma_f32_16x16x32_bf16 v[110:113], a[204:207], v[34:37], v[110:113]// 00000000B8E8: D3B5006E 0DBA45CC
	ds_read_b64_tr_b16 a[184:185], v8 offset:13312             // 00000000B8F0: DBC63400 B8000008
	ds_read_b64_tr_b16 a[186:187], v8 offset:13568             // 00000000B8F8: DBC63500 BA000008
	ds_read_b64_tr_b16 a[188:189], v9 offset:13312             // 00000000B900: DBC63400 BC000009
	ds_read_b64_tr_b16 a[190:191], v9 offset:13568             // 00000000B908: DBC63500 BE000009
	ds_read_b64_tr_b16 a[192:193], v8 offset:14336             // 00000000B910: DBC63800 C0000008
	ds_read_b64_tr_b16 a[194:195], v8 offset:14592             // 00000000B918: DBC63900 C2000008
	ds_read_b64_tr_b16 a[196:197], v9 offset:14336             // 00000000B920: DBC63800 C4000009
	ds_read_b64_tr_b16 a[198:199], v9 offset:14592             // 00000000B928: DBC63900 C6000009
	ds_read_b64_tr_b16 a[200:201], v8 offset:15360             // 00000000B930: DBC63C00 C8000008
	ds_read_b64_tr_b16 a[202:203], v8 offset:15616             // 00000000B938: DBC63D00 CA000008
	ds_read_b64_tr_b16 a[204:205], v9 offset:15360             // 00000000B940: DBC63C00 CC000009
	ds_read_b64_tr_b16 a[206:207], v9 offset:15616             // 00000000B948: DBC63D00 CE000009
	s_waitcnt lgkmcnt(0)                                       // 00000000B950: BF8CC07F
	v_mfma_f32_16x16x32_bf16 v[114:117], a[144:147], v[34:37], v[114:117]// 00000000B954: D3B50072 0DCA4590
	v_mfma_f32_16x16x32_bf16 v[118:121], a[148:151], v[34:37], v[118:121]// 00000000B95C: D3B50076 0DDA4594
	v_mfma_f32_16x16x32_bf16 v[122:125], a[152:155], v[34:37], v[122:125]// 00000000B964: D3B5007A 0DEA4598
	v_mfma_f32_16x16x32_bf16 v[126:129], a[156:159], v[34:37], v[126:129]// 00000000B96C: D3B5007E 0DFA459C
	v_mfma_f32_16x16x32_bf16 v[130:133], a[160:163], v[34:37], v[130:133]// 00000000B974: D3B50082 0E0A45A0
	v_mfma_f32_16x16x32_bf16 v[134:137], a[164:167], v[34:37], v[134:137]// 00000000B97C: D3B50086 0E1A45A4
	v_mfma_f32_16x16x32_bf16 v[138:141], a[168:171], v[34:37], v[138:141]// 00000000B984: D3B5008A 0E2A45A8
	v_mfma_f32_16x16x32_bf16 v[142:145], a[172:175], v[34:37], v[142:145]// 00000000B98C: D3B5008E 0E3A45AC
	v_mfma_f32_16x16x32_bf16 v[146:149], a[176:179], v[34:37], v[146:149]// 00000000B994: D3B50092 0E4A45B0
	v_mfma_f32_16x16x32_bf16 v[150:153], a[180:183], v[34:37], v[150:153]// 00000000B99C: D3B50096 0E5A45B4
	v_mfma_f32_16x16x32_bf16 v[154:157], a[184:187], v[34:37], v[154:157]// 00000000B9A4: D3B5009A 0E6A45B8
	v_mfma_f32_16x16x32_bf16 v[158:161], a[188:191], v[34:37], v[158:161]// 00000000B9AC: D3B5009E 0E7A45BC
	v_mfma_f32_16x16x32_bf16 v[162:165], a[192:195], v[34:37], v[162:165]// 00000000B9B4: D3B500A2 0E8A45C0
	v_mfma_f32_16x16x32_bf16 v[166:169], a[196:199], v[34:37], v[166:169]// 00000000B9BC: D3B500A6 0E9A45C4
	v_mfma_f32_16x16x32_bf16 v[170:173], a[200:203], v[34:37], v[170:173]// 00000000B9C4: D3B500AA 0EAA45C8
	v_mfma_f32_16x16x32_bf16 v[174:177], a[204:207], v[34:37], v[174:177]// 00000000B9CC: D3B500AE 0EBA45CC
	s_nop 8                                                    // 00000000B9D4: BF800008
	s_branch label_B738                                        // 00000000B9D8: BF820795

000000000000b9dc <label_96DC>:
	s_waitcnt lgkmcnt(0)                                       // 00000000B9DC: BF8CC07F
	v_mfma_f32_16x16x32_bf16 v[42:45], a[72:75], a[0:3], 0     // 00000000B9E0: D3B5002A 1A020148
	v_mfma_f32_16x16x32_bf16 v[42:45], a[76:79], a[4:7], v[42:45]// 00000000B9E8: D3B5002A 1CAA094C
	v_mfma_f32_16x16x32_bf16 v[42:45], a[80:83], a[8:11], v[42:45]// 00000000B9F0: D3B5002A 1CAA1150
	v_mfma_f32_16x16x32_bf16 v[42:45], a[84:87], a[12:15], v[42:45]// 00000000B9F8: D3B5002A 1CAA1954
	v_mfma_f32_16x16x32_bf16 v[42:45], a[88:91], a[16:19], v[42:45]// 00000000BA00: D3B5002A 1CAA2158
	v_mfma_f32_16x16x32_bf16 v[42:45], a[92:95], a[20:23], v[42:45]// 00000000BA08: D3B5002A 1CAA295C
	v_mfma_f32_16x16x32_bf16 v[42:45], a[96:99], a[24:27], v[42:45]// 00000000BA10: D3B5002A 1CAA3160
	v_mfma_f32_16x16x32_bf16 v[42:45], a[100:103], a[28:31], v[42:45]// 00000000BA18: D3B5002A 1CAA3964
	ds_read_b128 a[72:75], v19 offset:18432                    // 00000000BA20: DBFE4800 48000013
	ds_read_b128 a[76:79], v19 offset:19456                    // 00000000BA28: DBFE4C00 4C000013
	v_mfma_f32_16x16x32_bf16 v[42:45], a[104:107], a[32:35], v[42:45]// 00000000BA30: D3B5002A 1CAA4168
	v_mfma_f32_16x16x32_bf16 v[42:45], a[108:111], a[36:39], v[42:45]// 00000000BA38: D3B5002A 1CAA496C
	ds_read_b128 a[80:83], v19 offset:20480                    // 00000000BA40: DBFE5000 50000013
	ds_read_b128 a[84:87], v19 offset:21504                    // 00000000BA48: DBFE5400 54000013
	v_mfma_f32_16x16x32_bf16 v[42:45], a[112:115], a[40:43], v[42:45]// 00000000BA50: D3B5002A 1CAA5170
	v_mfma_f32_16x16x32_bf16 v[42:45], a[116:119], a[44:47], v[42:45]// 00000000BA58: D3B5002A 1CAA5974
	ds_read_b128 a[88:91], v19 offset:22528                    // 00000000BA60: DBFE5800 58000013
	ds_read_b128 a[92:95], v19 offset:23552                    // 00000000BA68: DBFE5C00 5C000013
	v_mfma_f32_16x16x32_bf16 v[42:45], a[120:123], a[48:51], v[42:45]// 00000000BA70: D3B5002A 1CAA6178
	v_mfma_f32_16x16x32_bf16 v[42:45], a[124:127], a[52:55], v[42:45]// 00000000BA78: D3B5002A 1CAA697C
	ds_read_b128 a[96:99], v19 offset:24576                    // 00000000BA80: DBFE6000 60000013
	ds_read_b128 a[100:103], v19 offset:25600                  // 00000000BA88: DBFE6400 64000013
	v_mfma_f32_16x16x32_bf16 v[42:45], a[128:131], a[56:59], v[42:45]// 00000000BA90: D3B5002A 1CAA7180
	v_mfma_f32_16x16x32_bf16 v[42:45], a[132:135], a[60:63], v[42:45]// 00000000BA98: D3B5002A 1CAA7984
	ds_read_b128 a[104:107], v19 offset:26624                  // 00000000BAA0: DBFE6800 68000013
	ds_read_b128 a[108:111], v19 offset:27648                  // 00000000BAA8: DBFE6C00 6C000013
	v_mfma_f32_16x16x32_bf16 v[42:45], a[136:139], a[64:67], v[42:45]// 00000000BAB0: D3B5002A 1CAA8188
	v_mfma_f32_16x16x32_bf16 v[42:45], a[140:143], a[68:71], v[42:45]// 00000000BAB8: D3B5002A 1CAA898C
	ds_read_b128 a[112:115], v19 offset:28672                  // 00000000BAC0: DBFE7000 70000013
	ds_read_b128 a[116:119], v19 offset:29696                  // 00000000BAC8: DBFE7400 74000013
	ds_read_b128 a[120:123], v19 offset:30720                  // 00000000BAD0: DBFE7800 78000013
	ds_read_b128 a[124:127], v19 offset:31744                  // 00000000BAD8: DBFE7C00 7C000013
	ds_read_b128 a[128:131], v19 offset:32768                  // 00000000BAE0: DBFE8000 80000013
	ds_read_b128 a[132:135], v19 offset:33792                  // 00000000BAE8: DBFE8400 84000013
	ds_read_b128 a[136:139], v19 offset:34816                  // 00000000BAF0: DBFE8800 88000013
	ds_read_b128 a[140:143], v19 offset:35840                  // 00000000BAF8: DBFE8C00 8C000013
	s_waitcnt lgkmcnt(0)                                       // 00000000BB00: BF8CC07F
	v_mfma_f32_16x16x32_bf16 v[46:49], a[72:75], a[0:3], 0     // 00000000BB04: D3B5002E 1A020148
	ds_read_b64_tr_b16 a[144:145], v10                         // 00000000BB0C: DBC60000 9000000A
	ds_read_b64_tr_b16 a[146:147], v10 offset:256              // 00000000BB14: DBC60100 9200000A
	ds_read_b64_tr_b16 a[148:149], v11                         // 00000000BB1C: DBC60000 9400000B
	ds_read_b64_tr_b16 a[150:151], v11 offset:256              // 00000000BB24: DBC60100 9600000B
	v_mfma_f32_16x16x32_bf16 v[46:49], a[76:79], a[4:7], v[46:49]// 00000000BB2C: D3B5002E 1CBA094C
	ds_read_b64_tr_b16 a[152:153], v10 offset:1024             // 00000000BB34: DBC60400 9800000A
	ds_read_b64_tr_b16 a[154:155], v10 offset:1280             // 00000000BB3C: DBC60500 9A00000A
	ds_read_b64_tr_b16 a[156:157], v11 offset:1024             // 00000000BB44: DBC60400 9C00000B
	ds_read_b64_tr_b16 a[158:159], v11 offset:1280             // 00000000BB4C: DBC60500 9E00000B
	v_mfma_f32_16x16x32_bf16 v[46:49], a[80:83], a[8:11], v[46:49]// 00000000BB54: D3B5002E 1CBA1150
	ds_read_b64_tr_b16 a[160:161], v10 offset:2048             // 00000000BB5C: DBC60800 A000000A
	ds_read_b64_tr_b16 a[162:163], v10 offset:2304             // 00000000BB64: DBC60900 A200000A
	ds_read_b64_tr_b16 a[164:165], v11 offset:2048             // 00000000BB6C: DBC60800 A400000B
	ds_read_b64_tr_b16 a[166:167], v11 offset:2304             // 00000000BB74: DBC60900 A600000B
	v_mfma_f32_16x16x32_bf16 v[46:49], a[84:87], a[12:15], v[46:49]// 00000000BB7C: D3B5002E 1CBA1954
	ds_read_b64_tr_b16 a[168:169], v10 offset:3072             // 00000000BB84: DBC60C00 A800000A
	ds_read_b64_tr_b16 a[170:171], v10 offset:3328             // 00000000BB8C: DBC60D00 AA00000A
	ds_read_b64_tr_b16 a[172:173], v11 offset:3072             // 00000000BB94: DBC60C00 AC00000B
	ds_read_b64_tr_b16 a[174:175], v11 offset:3328             // 00000000BB9C: DBC60D00 AE00000B
	v_mfma_f32_16x16x32_bf16 v[46:49], a[88:91], a[16:19], v[46:49]// 00000000BBA4: D3B5002E 1CBA2158
	ds_read_b64_tr_b16 a[176:177], v10 offset:4096             // 00000000BBAC: DBC61000 B000000A
	ds_read_b64_tr_b16 a[178:179], v10 offset:4352             // 00000000BBB4: DBC61100 B200000A
	ds_read_b64_tr_b16 a[180:181], v11 offset:4096             // 00000000BBBC: DBC61000 B400000B
	ds_read_b64_tr_b16 a[182:183], v11 offset:4352             // 00000000BBC4: DBC61100 B600000B
	v_mfma_f32_16x16x32_bf16 v[46:49], a[92:95], a[20:23], v[46:49]// 00000000BBCC: D3B5002E 1CBA295C
	ds_read_b64_tr_b16 a[184:185], v10 offset:5120             // 00000000BBD4: DBC61400 B800000A
	ds_read_b64_tr_b16 a[186:187], v10 offset:5376             // 00000000BBDC: DBC61500 BA00000A
	ds_read_b64_tr_b16 a[188:189], v11 offset:5120             // 00000000BBE4: DBC61400 BC00000B
	ds_read_b64_tr_b16 a[190:191], v11 offset:5376             // 00000000BBEC: DBC61500 BE00000B
	v_mfma_f32_16x16x32_bf16 v[46:49], a[96:99], a[24:27], v[46:49]// 00000000BBF4: D3B5002E 1CBA3160
	ds_read_b64_tr_b16 a[192:193], v10 offset:6144             // 00000000BBFC: DBC61800 C000000A
	ds_read_b64_tr_b16 a[194:195], v10 offset:6400             // 00000000BC04: DBC61900 C200000A
	ds_read_b64_tr_b16 a[196:197], v11 offset:6144             // 00000000BC0C: DBC61800 C400000B
	ds_read_b64_tr_b16 a[198:199], v11 offset:6400             // 00000000BC14: DBC61900 C600000B
	v_mfma_f32_16x16x32_bf16 v[46:49], a[100:103], a[28:31], v[46:49]// 00000000BC1C: D3B5002E 1CBA3964
	ds_read_b64_tr_b16 a[200:201], v10 offset:7168             // 00000000BC24: DBC61C00 C800000A
	ds_read_b64_tr_b16 a[202:203], v10 offset:7424             // 00000000BC2C: DBC61D00 CA00000A
	ds_read_b64_tr_b16 a[204:205], v11 offset:7168             // 00000000BC34: DBC61C00 CC00000B
	ds_read_b64_tr_b16 a[206:207], v11 offset:7424             // 00000000BC3C: DBC61D00 CE00000B
	v_mfma_f32_16x16x32_bf16 v[46:49], a[104:107], a[32:35], v[46:49]// 00000000BC44: D3B5002E 1CBA4168
	v_mfma_f32_16x16x32_bf16 v[46:49], a[108:111], a[36:39], v[46:49]// 00000000BC4C: D3B5002E 1CBA496C
	v_mfma_f32_16x16x32_bf16 v[46:49], a[112:115], a[40:43], v[46:49]// 00000000BC54: D3B5002E 1CBA5170
	v_mfma_f32_16x16x32_bf16 v[46:49], a[116:119], a[44:47], v[46:49]// 00000000BC5C: D3B5002E 1CBA5974
	v_mfma_f32_16x16x32_bf16 v[46:49], a[120:123], a[48:51], v[46:49]// 00000000BC64: D3B5002E 1CBA6178
	v_mfma_f32_16x16x32_bf16 v[46:49], a[124:127], a[52:55], v[46:49]// 00000000BC6C: D3B5002E 1CBA697C
	v_mfma_f32_16x16x32_bf16 v[46:49], a[128:131], a[56:59], v[46:49]// 00000000BC74: D3B5002E 1CBA7180
	v_mfma_f32_16x16x32_bf16 v[46:49], a[132:135], a[60:63], v[46:49]// 00000000BC7C: D3B5002E 1CBA7984
	v_mfma_f32_16x16x32_bf16 v[46:49], a[136:139], a[64:67], v[46:49]// 00000000BC84: D3B5002E 1CBA8188
	v_mfma_f32_16x16x32_bf16 v[46:49], a[140:143], a[68:71], v[46:49]// 00000000BC8C: D3B5002E 1CBA898C
	s_nop 8                                                    // 00000000BC94: BF800008
	s_and_b32 s56, s48, 0xff                                   // 00000000BC98: 8638FF30 000000FF
	v_mov_b32_e32 v29, s56                                     // 00000000BCA0: 7E3A0238
	v_lshrrev_b32_e32 v18, 4, v0                               // 00000000BCA4: 20240084
	v_mul_i32_i24_e32 v18, 4, v18                              // 00000000BCA8: 0C242484
	v_add_u32_e32 v19, 1, v18                                  // 00000000BCAC: 68262481
	v_add_u32_e32 v20, 2, v18                                  // 00000000BCB0: 68282482
	v_add_u32_e32 v21, 3, v18                                  // 00000000BCB4: 682A2483
	v_mov_b32_e32 v28, 0xff800000                              // 00000000BCB8: 7E3802FF FF800000
	v_cmp_lt_u32_e64 s[36:37], v18, v29                        // 00000000BCC0: D0C90024 00023B12
	v_add_u32_e32 v18, 16, v18                                 // 00000000BCC8: 68242490
	s_nop 0                                                    // 00000000BCCC: BF800000
	v_cndmask_b32_e64 v42, v28, v42, s[36:37]                  // 00000000BCD0: D100002A 0092551C
	v_cmp_lt_u32_e64 s[36:37], v19, v29                        // 00000000BCD8: D0C90024 00023B13
	v_add_u32_e32 v19, 16, v19                                 // 00000000BCE0: 68262690
	s_nop 0                                                    // 00000000BCE4: BF800000
	v_cndmask_b32_e64 v43, v28, v43, s[36:37]                  // 00000000BCE8: D100002B 0092571C
	v_cmp_lt_u32_e64 s[36:37], v20, v29                        // 00000000BCF0: D0C90024 00023B14
	v_add_u32_e32 v20, 16, v20                                 // 00000000BCF8: 68282890
	s_nop 0                                                    // 00000000BCFC: BF800000
	v_cndmask_b32_e64 v44, v28, v44, s[36:37]                  // 00000000BD00: D100002C 0092591C
	v_cmp_lt_u32_e64 s[36:37], v21, v29                        // 00000000BD08: D0C90024 00023B15
	v_add_u32_e32 v21, 16, v21                                 // 00000000BD10: 682A2A90
	s_nop 0                                                    // 00000000BD14: BF800000
	v_cndmask_b32_e64 v45, v28, v45, s[36:37]                  // 00000000BD18: D100002D 00925B1C
	v_cmp_lt_u32_e64 s[36:37], v18, v29                        // 00000000BD20: D0C90024 00023B12
	v_add_u32_e32 v18, 16, v18                                 // 00000000BD28: 68242490
	s_nop 0                                                    // 00000000BD2C: BF800000
	v_cndmask_b32_e64 v46, v28, v46, s[36:37]                  // 00000000BD30: D100002E 00925D1C
	v_cmp_lt_u32_e64 s[36:37], v19, v29                        // 00000000BD38: D0C90024 00023B13
	v_add_u32_e32 v19, 16, v19                                 // 00000000BD40: 68262690
	s_nop 0                                                    // 00000000BD44: BF800000
	v_cndmask_b32_e64 v47, v28, v47, s[36:37]                  // 00000000BD48: D100002F 00925F1C
	v_cmp_lt_u32_e64 s[36:37], v20, v29                        // 00000000BD50: D0C90024 00023B14
	v_add_u32_e32 v20, 16, v20                                 // 00000000BD58: 68282890
	s_nop 0                                                    // 00000000BD5C: BF800000
	v_cndmask_b32_e64 v48, v28, v48, s[36:37]                  // 00000000BD60: D1000030 0092611C
	v_cmp_lt_u32_e64 s[36:37], v21, v29                        // 00000000BD68: D0C90024 00023B15
	v_add_u32_e32 v21, 16, v21                                 // 00000000BD70: 682A2A90
	s_nop 0                                                    // 00000000BD74: BF800000
	v_cndmask_b32_e64 v49, v28, v49, s[36:37]                  // 00000000BD78: D1000031 0092631C
	s_cmp_le_i32 s83, s82                                      // 00000000BD80: BF055253
	s_cbranch_scc1 label_9B90                                  // 00000000BD84: BF850042
	v_mov_b32_e32 v28, s82                                     // 00000000BD88: 7E380252
	s_cmp_eq_i32 s81, 1                                        // 00000000BD8C: BF008151
	s_cbranch_scc1 label_9AAC                                  // 00000000BD90: BF850006
	s_cmp_eq_i32 s81, 2                                        // 00000000BD94: BF008251
	s_cbranch_scc1 label_9AA4                                  // 00000000BD98: BF850002
	v_add_u32_e32 v28, s7, v28                                 // 00000000BD9C: 68383807
	s_branch label_9AAC                                        // 00000000BDA0: BF820002

000000000000bda4 <label_9AA4>:
	s_lshr_b32 s56, s7, 1                                      // 00000000BDA4: 8F388107
	v_add_u32_e32 v28, s56, v28                                // 00000000BDA8: 68383838

000000000000bdac <label_9AAC>:
	s_sub_u32 s56, s83, 31                                     // 00000000BDAC: 80B89F53
	v_lshrrev_b32_e32 v18, 4, v0                               // 00000000BDB0: 20240084
	v_mul_i32_i24_e32 v18, 4, v18                              // 00000000BDB4: 0C242484
	v_add_u32_e32 v18, s56, v18                                // 00000000BDB8: 68242438
	v_add_u32_e32 v19, 1, v18                                  // 00000000BDBC: 68262481
	v_add_u32_e32 v20, 2, v18                                  // 00000000BDC0: 68282482
	v_add_u32_e32 v21, 3, v18                                  // 00000000BDC4: 682A2483
	v_mov_b32_e32 v29, 0xff800000                              // 00000000BDC8: 7E3A02FF FF800000
	v_cmp_le_u32_e64 s[36:37], v18, v28                        // 00000000BDD0: D0CB0024 00023912
	v_add_u32_e32 v18, 16, v18                                 // 00000000BDD8: 68242490
	s_nop 0                                                    // 00000000BDDC: BF800000
	v_cndmask_b32_e64 v42, v29, v42, s[36:37]                  // 00000000BDE0: D100002A 0092551D
	v_cmp_le_u32_e64 s[36:37], v19, v28                        // 00000000BDE8: D0CB0024 00023913
	v_add_u32_e32 v19, 16, v19                                 // 00000000BDF0: 68262690
	s_nop 0                                                    // 00000000BDF4: BF800000
	v_cndmask_b32_e64 v43, v29, v43, s[36:37]                  // 00000000BDF8: D100002B 0092571D
	v_cmp_le_u32_e64 s[36:37], v20, v28                        // 00000000BE00: D0CB0024 00023914
	v_add_u32_e32 v20, 16, v20                                 // 00000000BE08: 68282890
	s_nop 0                                                    // 00000000BE0C: BF800000
	v_cndmask_b32_e64 v44, v29, v44, s[36:37]                  // 00000000BE10: D100002C 0092591D
	v_cmp_le_u32_e64 s[36:37], v21, v28                        // 00000000BE18: D0CB0024 00023915
	v_add_u32_e32 v21, 16, v21                                 // 00000000BE20: 682A2A90
	s_nop 0                                                    // 00000000BE24: BF800000
	v_cndmask_b32_e64 v45, v29, v45, s[36:37]                  // 00000000BE28: D100002D 00925B1D
	v_cmp_le_u32_e64 s[36:37], v18, v28                        // 00000000BE30: D0CB0024 00023912
	v_add_u32_e32 v18, 16, v18                                 // 00000000BE38: 68242490
	s_nop 0                                                    // 00000000BE3C: BF800000
	v_cndmask_b32_e64 v46, v29, v46, s[36:37]                  // 00000000BE40: D100002E 00925D1D
	v_cmp_le_u32_e64 s[36:37], v19, v28                        // 00000000BE48: D0CB0024 00023913
	v_add_u32_e32 v19, 16, v19                                 // 00000000BE50: 68262690
	s_nop 0                                                    // 00000000BE54: BF800000
	v_cndmask_b32_e64 v47, v29, v47, s[36:37]                  // 00000000BE58: D100002F 00925F1D
	v_cmp_le_u32_e64 s[36:37], v20, v28                        // 00000000BE60: D0CB0024 00023914
	v_add_u32_e32 v20, 16, v20                                 // 00000000BE68: 68282890
	s_nop 0                                                    // 00000000BE6C: BF800000
	v_cndmask_b32_e64 v48, v29, v48, s[36:37]                  // 00000000BE70: D1000030 0092611D
	v_cmp_le_u32_e64 s[36:37], v21, v28                        // 00000000BE78: D0CB0024 00023915
	v_add_u32_e32 v21, 16, v21                                 // 00000000BE80: 682A2A90
	s_nop 0                                                    // 00000000BE84: BF800000
	v_cndmask_b32_e64 v49, v29, v49, s[36:37]                  // 00000000BE88: D1000031 0092631D

000000000000be90 <label_9B90>:
	s_add_u32 s83, s84, s83                                    // 00000000BE90: 80535354
	s_nop 2                                                    // 00000000BE94: BF800002
	v_mov_b32_e32 v29, v42                                     // 00000000BE98: 7E3A032A
	v_max3_f32 v29, v42, v43, v29                              // 00000000BE9C: D1D3001D 0476572A
	v_max3_f32 v29, v44, v45, v29                              // 00000000BEA4: D1D3001D 04765B2C
	v_max3_f32 v29, v46, v47, v29                              // 00000000BEAC: D1D3001D 04765F2E
	v_max3_f32 v29, v48, v49, v29                              // 00000000BEB4: D1D3001D 04766330
	v_mov_b32_e32 v28, v29                                     // 00000000BEBC: 7E38031D
	v_mov_b32_e32 v29, v29                                     // 00000000BEC0: 7E3A031D
	s_nop 1                                                    // 00000000BEC4: BF800001
	v_permlane16_swap_b32_e32 v28, v29                         // 00000000BEC8: 7E38B31D
	v_mov_b32_e32 v31, v28                                     // 00000000BECC: 7E3E031C
	v_mov_b32_e32 v30, v29                                     // 00000000BED0: 7E3C031D
	s_nop 1                                                    // 00000000BED4: BF800001
	v_permlane32_swap_b32_e32 v28, v29                         // 00000000BED8: 7E38B51D
	v_permlane32_swap_b32_e32 v30, v31                         // 00000000BEDC: 7E3CB51F
	v_max3_f32 v29, v28, v29, v29                              // 00000000BEE0: D1D3001D 04763B1C
	v_max3_f32 v29, v30, v31, v29                              // 00000000BEE8: D1D3001D 04763F1E
	v_mov_b32_e32 v28, 0xff800000                              // 00000000BEF0: 7E3802FF FF800000
	v_cmp_eq_u32_e64 s[36:37], v28, v2                         // 00000000BEF8: D0CA0024 0002051C
	v_max_f32_e32 v29, v29, v2                                 // 00000000BF00: 163A051D
	v_sub_f32_e32 v16, v2, v29                                 // 00000000BF04: 04203B02
	v_cndmask_b32_e64 v16, v16, 0, s[36:37]                    // 00000000BF08: D1000010 00910110
	v_mov_b32_e32 v2, v29                                      // 00000000BF10: 7E04031D
	v_mul_f32_e32 v29, s5, v29                                 // 00000000BF14: 0A3A3A05
	v_mul_f32_e32 v16, s5, v16                                 // 00000000BF18: 0A202005
	v_exp_f32_e32 v16, v16                                     // 00000000BF1C: 7E204110
	v_fma_f32 v42, v42, s5, -v29                               // 00000000BF20: D1CB002A 84740B2A
	v_fma_f32 v43, v43, s5, -v29                               // 00000000BF28: D1CB002B 84740B2B
	v_fma_f32 v44, v44, s5, -v29                               // 00000000BF30: D1CB002C 84740B2C
	v_fma_f32 v45, v45, s5, -v29                               // 00000000BF38: D1CB002D 84740B2D
	v_fma_f32 v46, v46, s5, -v29                               // 00000000BF40: D1CB002E 84740B2E
	v_fma_f32 v47, v47, s5, -v29                               // 00000000BF48: D1CB002F 84740B2F
	v_fma_f32 v48, v48, s5, -v29                               // 00000000BF50: D1CB0030 84740B30
	v_fma_f32 v49, v49, s5, -v29                               // 00000000BF58: D1CB0031 84740B31
	v_exp_f32_e32 v42, v42                                     // 00000000BF60: 7E54412A
	v_exp_f32_e32 v43, v43                                     // 00000000BF64: 7E56412B
	v_exp_f32_e32 v44, v44                                     // 00000000BF68: 7E58412C
	v_exp_f32_e32 v45, v45                                     // 00000000BF6C: 7E5A412D
	v_exp_f32_e32 v46, v46                                     // 00000000BF70: 7E5C412E
	v_exp_f32_e32 v47, v47                                     // 00000000BF74: 7E5E412F
	v_exp_f32_e32 v48, v48                                     // 00000000BF78: 7E604130
	v_exp_f32_e32 v49, v49                                     // 00000000BF7C: 7E624131
	v_mul_f32_e32 v4, v16, v4                                  // 00000000BF80: 0A080910
	v_mov_b32_e32 v28, v42                                     // 00000000BF84: 7E38032A
	v_add_f32_e32 v28, v43, v28                                // 00000000BF88: 0238392B
	v_add_f32_e32 v28, v44, v28                                // 00000000BF8C: 0238392C
	v_add_f32_e32 v28, v45, v28                                // 00000000BF90: 0238392D
	v_add_f32_e32 v28, v46, v28                                // 00000000BF94: 0238392E
	v_add_f32_e32 v28, v47, v28                                // 00000000BF98: 0238392F
	v_add_f32_e32 v28, v48, v28                                // 00000000BF9C: 02383930
	v_add_f32_e32 v28, v49, v28                                // 00000000BFA0: 02383931
	v_add_f32_e32 v4, v28, v4                                  // 00000000BFA4: 0208091C
	v_cvt_pk_bf16_f32 v42, v42, v43                            // 00000000BFA8: D268002A 0002572A
	v_cvt_pk_bf16_f32 v43, v44, v45                            // 00000000BFB0: D268002B 00025B2C
	v_cvt_pk_bf16_f32 v44, v46, v47                            // 00000000BFB8: D268002C 00025F2E
	v_cvt_pk_bf16_f32 v45, v48, v49                            // 00000000BFC0: D268002D 00026330
	s_nop 0                                                    // 00000000BFC8: BF800000
	v_permlane32_swap_b32_e32 v42, v44                         // 00000000BFCC: 7E54B52C
	v_permlane32_swap_b32_e32 v43, v45                         // 00000000BFD0: 7E56B52D
	s_nop 0                                                    // 00000000BFD4: BF800000
	v_permlane16_swap_b32_e32 v42, v44                         // 00000000BFD8: 7E54B32C
	v_permlane16_swap_b32_e32 v43, v45                         // 00000000BFDC: 7E56B32D
	v_mov_b32_e32 v30, v16                                     // 00000000BFE0: 7E3C0310
	v_mov_b32_e32 v31, v16                                     // 00000000BFE4: 7E3E0310
	v_pk_mul_f32 v[50:51], v[30:31], v[50:51]                  // 00000000BFE8: D3B14032 1802651E
	v_pk_mul_f32 v[52:53], v[30:31], v[52:53]                  // 00000000BFF0: D3B14034 1802691E
	v_pk_mul_f32 v[54:55], v[30:31], v[54:55]                  // 00000000BFF8: D3B14036 18026D1E
	v_pk_mul_f32 v[56:57], v[30:31], v[56:57]                  // 00000000C000: D3B14038 1802711E
	v_pk_mul_f32 v[58:59], v[30:31], v[58:59]                  // 00000000C008: D3B1403A 1802751E
	v_pk_mul_f32 v[60:61], v[30:31], v[60:61]                  // 00000000C010: D3B1403C 1802791E
	v_pk_mul_f32 v[62:63], v[30:31], v[62:63]                  // 00000000C018: D3B1403E 18027D1E
	v_pk_mul_f32 v[64:65], v[30:31], v[64:65]                  // 00000000C020: D3B14040 1802811E
	v_pk_mul_f32 v[66:67], v[30:31], v[66:67]                  // 00000000C028: D3B14042 1802851E
	v_pk_mul_f32 v[68:69], v[30:31], v[68:69]                  // 00000000C030: D3B14044 1802891E
	v_pk_mul_f32 v[70:71], v[30:31], v[70:71]                  // 00000000C038: D3B14046 18028D1E
	v_pk_mul_f32 v[72:73], v[30:31], v[72:73]                  // 00000000C040: D3B14048 1802911E
	v_pk_mul_f32 v[74:75], v[30:31], v[74:75]                  // 00000000C048: D3B1404A 1802951E
	v_pk_mul_f32 v[76:77], v[30:31], v[76:77]                  // 00000000C050: D3B1404C 1802991E
	v_pk_mul_f32 v[78:79], v[30:31], v[78:79]                  // 00000000C058: D3B1404E 18029D1E
	v_pk_mul_f32 v[80:81], v[30:31], v[80:81]                  // 00000000C060: D3B14050 1802A11E
	v_pk_mul_f32 v[82:83], v[30:31], v[82:83]                  // 00000000C068: D3B14052 1802A51E
	v_pk_mul_f32 v[84:85], v[30:31], v[84:85]                  // 00000000C070: D3B14054 1802A91E
	v_pk_mul_f32 v[86:87], v[30:31], v[86:87]                  // 00000000C078: D3B14056 1802AD1E
	v_pk_mul_f32 v[88:89], v[30:31], v[88:89]                  // 00000000C080: D3B14058 1802B11E
	v_pk_mul_f32 v[90:91], v[30:31], v[90:91]                  // 00000000C088: D3B1405A 1802B51E
	v_pk_mul_f32 v[92:93], v[30:31], v[92:93]                  // 00000000C090: D3B1405C 1802B91E
	v_pk_mul_f32 v[94:95], v[30:31], v[94:95]                  // 00000000C098: D3B1405E 1802BD1E
	v_pk_mul_f32 v[96:97], v[30:31], v[96:97]                  // 00000000C0A0: D3B14060 1802C11E
	v_pk_mul_f32 v[98:99], v[30:31], v[98:99]                  // 00000000C0A8: D3B14062 1802C51E
	v_pk_mul_f32 v[100:101], v[30:31], v[100:101]              // 00000000C0B0: D3B14064 1802C91E
	v_pk_mul_f32 v[102:103], v[30:31], v[102:103]              // 00000000C0B8: D3B14066 1802CD1E
	v_pk_mul_f32 v[104:105], v[30:31], v[104:105]              // 00000000C0C0: D3B14068 1802D11E
	v_pk_mul_f32 v[106:107], v[30:31], v[106:107]              // 00000000C0C8: D3B1406A 1802D51E
	v_pk_mul_f32 v[108:109], v[30:31], v[108:109]              // 00000000C0D0: D3B1406C 1802D91E
	v_pk_mul_f32 v[110:111], v[30:31], v[110:111]              // 00000000C0D8: D3B1406E 1802DD1E
	v_pk_mul_f32 v[112:113], v[30:31], v[112:113]              // 00000000C0E0: D3B14070 1802E11E
	v_pk_mul_f32 v[114:115], v[30:31], v[114:115]              // 00000000C0E8: D3B14072 1802E51E
	v_pk_mul_f32 v[116:117], v[30:31], v[116:117]              // 00000000C0F0: D3B14074 1802E91E
	v_pk_mul_f32 v[118:119], v[30:31], v[118:119]              // 00000000C0F8: D3B14076 1802ED1E
	v_pk_mul_f32 v[120:121], v[30:31], v[120:121]              // 00000000C100: D3B14078 1802F11E
	v_pk_mul_f32 v[122:123], v[30:31], v[122:123]              // 00000000C108: D3B1407A 1802F51E
	v_pk_mul_f32 v[124:125], v[30:31], v[124:125]              // 00000000C110: D3B1407C 1802F91E
	v_pk_mul_f32 v[126:127], v[30:31], v[126:127]              // 00000000C118: D3B1407E 1802FD1E
	v_pk_mul_f32 v[128:129], v[30:31], v[128:129]              // 00000000C120: D3B14080 1803011E
	v_pk_mul_f32 v[130:131], v[30:31], v[130:131]              // 00000000C128: D3B14082 1803051E
	v_pk_mul_f32 v[132:133], v[30:31], v[132:133]              // 00000000C130: D3B14084 1803091E
	v_pk_mul_f32 v[134:135], v[30:31], v[134:135]              // 00000000C138: D3B14086 18030D1E
	v_pk_mul_f32 v[136:137], v[30:31], v[136:137]              // 00000000C140: D3B14088 1803111E
	v_pk_mul_f32 v[138:139], v[30:31], v[138:139]              // 00000000C148: D3B1408A 1803151E
	v_pk_mul_f32 v[140:141], v[30:31], v[140:141]              // 00000000C150: D3B1408C 1803191E
	v_pk_mul_f32 v[142:143], v[30:31], v[142:143]              // 00000000C158: D3B1408E 18031D1E
	v_pk_mul_f32 v[144:145], v[30:31], v[144:145]              // 00000000C160: D3B14090 1803211E
	v_pk_mul_f32 v[146:147], v[30:31], v[146:147]              // 00000000C168: D3B14092 1803251E
	v_pk_mul_f32 v[148:149], v[30:31], v[148:149]              // 00000000C170: D3B14094 1803291E
	v_pk_mul_f32 v[150:151], v[30:31], v[150:151]              // 00000000C178: D3B14096 18032D1E
	v_pk_mul_f32 v[152:153], v[30:31], v[152:153]              // 00000000C180: D3B14098 1803311E
	v_pk_mul_f32 v[154:155], v[30:31], v[154:155]              // 00000000C188: D3B1409A 1803351E
	v_pk_mul_f32 v[156:157], v[30:31], v[156:157]              // 00000000C190: D3B1409C 1803391E
	v_pk_mul_f32 v[158:159], v[30:31], v[158:159]              // 00000000C198: D3B1409E 18033D1E
	v_pk_mul_f32 v[160:161], v[30:31], v[160:161]              // 00000000C1A0: D3B140A0 1803411E
	v_pk_mul_f32 v[162:163], v[30:31], v[162:163]              // 00000000C1A8: D3B140A2 1803451E
	v_pk_mul_f32 v[164:165], v[30:31], v[164:165]              // 00000000C1B0: D3B140A4 1803491E
	v_pk_mul_f32 v[166:167], v[30:31], v[166:167]              // 00000000C1B8: D3B140A6 18034D1E
	v_pk_mul_f32 v[168:169], v[30:31], v[168:169]              // 00000000C1C0: D3B140A8 1803511E
	v_pk_mul_f32 v[170:171], v[30:31], v[170:171]              // 00000000C1C8: D3B140AA 1803551E
	v_pk_mul_f32 v[172:173], v[30:31], v[172:173]              // 00000000C1D0: D3B140AC 1803591E
	v_pk_mul_f32 v[174:175], v[30:31], v[174:175]              // 00000000C1D8: D3B140AE 18035D1E
	v_pk_mul_f32 v[176:177], v[30:31], v[176:177]              // 00000000C1E0: D3B140B0 1803611E
	s_waitcnt lgkmcnt(0)                                       // 00000000C1E8: BF8CC07F
	v_mfma_f32_16x16x32_bf16 v[50:53], a[144:147], v[42:45], v[50:53]// 00000000C1EC: D3B50032 0CCA5590
	v_mfma_f32_16x16x32_bf16 v[54:57], a[148:151], v[42:45], v[54:57]// 00000000C1F4: D3B50036 0CDA5594
	v_mfma_f32_16x16x32_bf16 v[58:61], a[152:155], v[42:45], v[58:61]// 00000000C1FC: D3B5003A 0CEA5598
	v_mfma_f32_16x16x32_bf16 v[62:65], a[156:159], v[42:45], v[62:65]// 00000000C204: D3B5003E 0CFA559C
	v_mfma_f32_16x16x32_bf16 v[66:69], a[160:163], v[42:45], v[66:69]// 00000000C20C: D3B50042 0D0A55A0
	v_mfma_f32_16x16x32_bf16 v[70:73], a[164:167], v[42:45], v[70:73]// 00000000C214: D3B50046 0D1A55A4
	v_mfma_f32_16x16x32_bf16 v[74:77], a[168:171], v[42:45], v[74:77]// 00000000C21C: D3B5004A 0D2A55A8
	v_mfma_f32_16x16x32_bf16 v[78:81], a[172:175], v[42:45], v[78:81]// 00000000C224: D3B5004E 0D3A55AC
	v_mfma_f32_16x16x32_bf16 v[82:85], a[176:179], v[42:45], v[82:85]// 00000000C22C: D3B50052 0D4A55B0
	v_mfma_f32_16x16x32_bf16 v[86:89], a[180:183], v[42:45], v[86:89]// 00000000C234: D3B50056 0D5A55B4
	v_mfma_f32_16x16x32_bf16 v[90:93], a[184:187], v[42:45], v[90:93]// 00000000C23C: D3B5005A 0D6A55B8
	ds_read_b64_tr_b16 a[144:145], v10 offset:8192             // 00000000C244: DBC62000 9000000A
	ds_read_b64_tr_b16 a[146:147], v10 offset:8448             // 00000000C24C: DBC62100 9200000A
	ds_read_b64_tr_b16 a[148:149], v11 offset:8192             // 00000000C254: DBC62000 9400000B
	ds_read_b64_tr_b16 a[150:151], v11 offset:8448             // 00000000C25C: DBC62100 9600000B
	v_mfma_f32_16x16x32_bf16 v[94:97], a[188:191], v[42:45], v[94:97]// 00000000C264: D3B5005E 0D7A55BC
	ds_read_b64_tr_b16 a[152:153], v10 offset:9216             // 00000000C26C: DBC62400 9800000A
	ds_read_b64_tr_b16 a[154:155], v10 offset:9472             // 00000000C274: DBC62500 9A00000A
	ds_read_b64_tr_b16 a[156:157], v11 offset:9216             // 00000000C27C: DBC62400 9C00000B
	ds_read_b64_tr_b16 a[158:159], v11 offset:9472             // 00000000C284: DBC62500 9E00000B
	v_mfma_f32_16x16x32_bf16 v[98:101], a[192:195], v[42:45], v[98:101]// 00000000C28C: D3B50062 0D8A55C0
	ds_read_b64_tr_b16 a[160:161], v10 offset:10240            // 00000000C294: DBC62800 A000000A
	ds_read_b64_tr_b16 a[162:163], v10 offset:10496            // 00000000C29C: DBC62900 A200000A
	ds_read_b64_tr_b16 a[164:165], v11 offset:10240            // 00000000C2A4: DBC62800 A400000B
	ds_read_b64_tr_b16 a[166:167], v11 offset:10496            // 00000000C2AC: DBC62900 A600000B
	v_mfma_f32_16x16x32_bf16 v[102:105], a[196:199], v[42:45], v[102:105]// 00000000C2B4: D3B50066 0D9A55C4
	ds_read_b64_tr_b16 a[168:169], v10 offset:11264            // 00000000C2BC: DBC62C00 A800000A
	ds_read_b64_tr_b16 a[170:171], v10 offset:11520            // 00000000C2C4: DBC62D00 AA00000A
	ds_read_b64_tr_b16 a[172:173], v11 offset:11264            // 00000000C2CC: DBC62C00 AC00000B
	ds_read_b64_tr_b16 a[174:175], v11 offset:11520            // 00000000C2D4: DBC62D00 AE00000B
	v_mfma_f32_16x16x32_bf16 v[106:109], a[200:203], v[42:45], v[106:109]// 00000000C2DC: D3B5006A 0DAA55C8
	ds_read_b64_tr_b16 a[176:177], v10 offset:12288            // 00000000C2E4: DBC63000 B000000A
	ds_read_b64_tr_b16 a[178:179], v10 offset:12544            // 00000000C2EC: DBC63100 B200000A
	ds_read_b64_tr_b16 a[180:181], v11 offset:12288            // 00000000C2F4: DBC63000 B400000B
	ds_read_b64_tr_b16 a[182:183], v11 offset:12544            // 00000000C2FC: DBC63100 B600000B
	v_mfma_f32_16x16x32_bf16 v[110:113], a[204:207], v[42:45], v[110:113]// 00000000C304: D3B5006E 0DBA55CC
	ds_read_b64_tr_b16 a[184:185], v10 offset:13312            // 00000000C30C: DBC63400 B800000A
	ds_read_b64_tr_b16 a[186:187], v10 offset:13568            // 00000000C314: DBC63500 BA00000A
	ds_read_b64_tr_b16 a[188:189], v11 offset:13312            // 00000000C31C: DBC63400 BC00000B
	ds_read_b64_tr_b16 a[190:191], v11 offset:13568            // 00000000C324: DBC63500 BE00000B
	ds_read_b64_tr_b16 a[192:193], v10 offset:14336            // 00000000C32C: DBC63800 C000000A
	ds_read_b64_tr_b16 a[194:195], v10 offset:14592            // 00000000C334: DBC63900 C200000A
	ds_read_b64_tr_b16 a[196:197], v11 offset:14336            // 00000000C33C: DBC63800 C400000B
	ds_read_b64_tr_b16 a[198:199], v11 offset:14592            // 00000000C344: DBC63900 C600000B
	ds_read_b64_tr_b16 a[200:201], v10 offset:15360            // 00000000C34C: DBC63C00 C800000A
	ds_read_b64_tr_b16 a[202:203], v10 offset:15616            // 00000000C354: DBC63D00 CA00000A
	ds_read_b64_tr_b16 a[204:205], v11 offset:15360            // 00000000C35C: DBC63C00 CC00000B
	ds_read_b64_tr_b16 a[206:207], v11 offset:15616            // 00000000C364: DBC63D00 CE00000B
	s_waitcnt lgkmcnt(0)                                       // 00000000C36C: BF8CC07F
	v_mfma_f32_16x16x32_bf16 v[114:117], a[144:147], v[42:45], v[114:117]// 00000000C370: D3B50072 0DCA5590
	v_mfma_f32_16x16x32_bf16 v[118:121], a[148:151], v[42:45], v[118:121]// 00000000C378: D3B50076 0DDA5594
	v_mfma_f32_16x16x32_bf16 v[122:125], a[152:155], v[42:45], v[122:125]// 00000000C380: D3B5007A 0DEA5598
	v_mfma_f32_16x16x32_bf16 v[126:129], a[156:159], v[42:45], v[126:129]// 00000000C388: D3B5007E 0DFA559C
	v_mfma_f32_16x16x32_bf16 v[130:133], a[160:163], v[42:45], v[130:133]// 00000000C390: D3B50082 0E0A55A0
	v_mfma_f32_16x16x32_bf16 v[134:137], a[164:167], v[42:45], v[134:137]// 00000000C398: D3B50086 0E1A55A4
	v_mfma_f32_16x16x32_bf16 v[138:141], a[168:171], v[42:45], v[138:141]// 00000000C3A0: D3B5008A 0E2A55A8
	v_mfma_f32_16x16x32_bf16 v[142:145], a[172:175], v[42:45], v[142:145]// 00000000C3A8: D3B5008E 0E3A55AC
	v_mfma_f32_16x16x32_bf16 v[146:149], a[176:179], v[42:45], v[146:149]// 00000000C3B0: D3B50092 0E4A55B0
	v_mfma_f32_16x16x32_bf16 v[150:153], a[180:183], v[42:45], v[150:153]// 00000000C3B8: D3B50096 0E5A55B4
	v_mfma_f32_16x16x32_bf16 v[154:157], a[184:187], v[42:45], v[154:157]// 00000000C3C0: D3B5009A 0E6A55B8
	v_mfma_f32_16x16x32_bf16 v[158:161], a[188:191], v[42:45], v[158:161]// 00000000C3C8: D3B5009E 0E7A55BC
	v_mfma_f32_16x16x32_bf16 v[162:165], a[192:195], v[42:45], v[162:165]// 00000000C3D0: D3B500A2 0E8A55C0
	v_mfma_f32_16x16x32_bf16 v[166:169], a[196:199], v[42:45], v[166:169]// 00000000C3D8: D3B500A6 0E9A55C4
	v_mfma_f32_16x16x32_bf16 v[170:173], a[200:203], v[42:45], v[170:173]// 00000000C3E0: D3B500AA 0EAA55C8
	v_mfma_f32_16x16x32_bf16 v[174:177], a[204:207], v[42:45], v[174:177]// 00000000C3E8: D3B500AE 0EBA55CC
	s_nop 8                                                    // 00000000C3F0: BF800008
	s_branch label_B738                                        // 00000000C3F4: BF82050E

000000000000c3f8 <label_A0F8>:
	s_waitcnt lgkmcnt(0)                                       // 00000000C3F8: BF8CC07F
	v_mfma_f32_16x16x32_bf16 v[34:37], a[72:75], a[0:3], 0     // 00000000C3FC: D3B50022 1A020148
	v_mfma_f32_16x16x32_bf16 v[34:37], a[76:79], a[4:7], v[34:37]// 00000000C404: D3B50022 1C8A094C
	v_mfma_f32_16x16x32_bf16 v[34:37], a[80:83], a[8:11], v[34:37]// 00000000C40C: D3B50022 1C8A1150
	v_mfma_f32_16x16x32_bf16 v[34:37], a[84:87], a[12:15], v[34:37]// 00000000C414: D3B50022 1C8A1954
	v_mfma_f32_16x16x32_bf16 v[34:37], a[88:91], a[16:19], v[34:37]// 00000000C41C: D3B50022 1C8A2158
	v_mfma_f32_16x16x32_bf16 v[34:37], a[92:95], a[20:23], v[34:37]// 00000000C424: D3B50022 1C8A295C
	v_mfma_f32_16x16x32_bf16 v[34:37], a[96:99], a[24:27], v[34:37]// 00000000C42C: D3B50022 1C8A3160
	v_mfma_f32_16x16x32_bf16 v[34:37], a[100:103], a[28:31], v[34:37]// 00000000C434: D3B50022 1C8A3964
	ds_read_b128 a[72:75], v20 offset:18432                    // 00000000C43C: DBFE4800 48000014
	ds_read_b128 a[76:79], v20 offset:19456                    // 00000000C444: DBFE4C00 4C000014
	v_mfma_f32_16x16x32_bf16 v[34:37], a[104:107], a[32:35], v[34:37]// 00000000C44C: D3B50022 1C8A4168
	v_mfma_f32_16x16x32_bf16 v[34:37], a[108:111], a[36:39], v[34:37]// 00000000C454: D3B50022 1C8A496C
	ds_read_b128 a[80:83], v20 offset:20480                    // 00000000C45C: DBFE5000 50000014
	ds_read_b128 a[84:87], v20 offset:21504                    // 00000000C464: DBFE5400 54000014
	v_mfma_f32_16x16x32_bf16 v[34:37], a[112:115], a[40:43], v[34:37]// 00000000C46C: D3B50022 1C8A5170
	v_mfma_f32_16x16x32_bf16 v[34:37], a[116:119], a[44:47], v[34:37]// 00000000C474: D3B50022 1C8A5974
	ds_read_b128 a[88:91], v20 offset:22528                    // 00000000C47C: DBFE5800 58000014
	ds_read_b128 a[92:95], v20 offset:23552                    // 00000000C484: DBFE5C00 5C000014
	v_mfma_f32_16x16x32_bf16 v[34:37], a[120:123], a[48:51], v[34:37]// 00000000C48C: D3B50022 1C8A6178
	v_mfma_f32_16x16x32_bf16 v[34:37], a[124:127], a[52:55], v[34:37]// 00000000C494: D3B50022 1C8A697C
	ds_read_b128 a[96:99], v20 offset:24576                    // 00000000C49C: DBFE6000 60000014
	ds_read_b128 a[100:103], v20 offset:25600                  // 00000000C4A4: DBFE6400 64000014
	v_mfma_f32_16x16x32_bf16 v[34:37], a[128:131], a[56:59], v[34:37]// 00000000C4AC: D3B50022 1C8A7180
	v_mfma_f32_16x16x32_bf16 v[34:37], a[132:135], a[60:63], v[34:37]// 00000000C4B4: D3B50022 1C8A7984
	ds_read_b128 a[104:107], v20 offset:26624                  // 00000000C4BC: DBFE6800 68000014
	ds_read_b128 a[108:111], v20 offset:27648                  // 00000000C4C4: DBFE6C00 6C000014
	v_mfma_f32_16x16x32_bf16 v[34:37], a[136:139], a[64:67], v[34:37]// 00000000C4CC: D3B50022 1C8A8188
	v_mfma_f32_16x16x32_bf16 v[34:37], a[140:143], a[68:71], v[34:37]// 00000000C4D4: D3B50022 1C8A898C
	ds_read_b128 a[112:115], v20 offset:28672                  // 00000000C4DC: DBFE7000 70000014
	ds_read_b128 a[116:119], v20 offset:29696                  // 00000000C4E4: DBFE7400 74000014
	ds_read_b128 a[120:123], v20 offset:30720                  // 00000000C4EC: DBFE7800 78000014
	ds_read_b128 a[124:127], v20 offset:31744                  // 00000000C4F4: DBFE7C00 7C000014
	ds_read_b128 a[128:131], v20 offset:32768                  // 00000000C4FC: DBFE8000 80000014
	ds_read_b128 a[132:135], v20 offset:33792                  // 00000000C504: DBFE8400 84000014
	ds_read_b128 a[136:139], v20 offset:34816                  // 00000000C50C: DBFE8800 88000014
	ds_read_b128 a[140:143], v20 offset:35840                  // 00000000C514: DBFE8C00 8C000014
	s_waitcnt lgkmcnt(0)                                       // 00000000C51C: BF8CC07F
	v_mfma_f32_16x16x32_bf16 v[38:41], a[72:75], a[0:3], 0     // 00000000C520: D3B50026 1A020148
	ds_read_b64_tr_b16 a[144:145], v12                         // 00000000C528: DBC60000 9000000C
	ds_read_b64_tr_b16 a[146:147], v12 offset:256              // 00000000C530: DBC60100 9200000C
	ds_read_b64_tr_b16 a[148:149], v13                         // 00000000C538: DBC60000 9400000D
	ds_read_b64_tr_b16 a[150:151], v13 offset:256              // 00000000C540: DBC60100 9600000D
	v_mfma_f32_16x16x32_bf16 v[38:41], a[76:79], a[4:7], v[38:41]// 00000000C548: D3B50026 1C9A094C
	ds_read_b64_tr_b16 a[152:153], v12 offset:1024             // 00000000C550: DBC60400 9800000C
	ds_read_b64_tr_b16 a[154:155], v12 offset:1280             // 00000000C558: DBC60500 9A00000C
	ds_read_b64_tr_b16 a[156:157], v13 offset:1024             // 00000000C560: DBC60400 9C00000D
	ds_read_b64_tr_b16 a[158:159], v13 offset:1280             // 00000000C568: DBC60500 9E00000D
	v_mfma_f32_16x16x32_bf16 v[38:41], a[80:83], a[8:11], v[38:41]// 00000000C570: D3B50026 1C9A1150
	ds_read_b64_tr_b16 a[160:161], v12 offset:2048             // 00000000C578: DBC60800 A000000C
	ds_read_b64_tr_b16 a[162:163], v12 offset:2304             // 00000000C580: DBC60900 A200000C
	ds_read_b64_tr_b16 a[164:165], v13 offset:2048             // 00000000C588: DBC60800 A400000D
	ds_read_b64_tr_b16 a[166:167], v13 offset:2304             // 00000000C590: DBC60900 A600000D
	v_mfma_f32_16x16x32_bf16 v[38:41], a[84:87], a[12:15], v[38:41]// 00000000C598: D3B50026 1C9A1954
	ds_read_b64_tr_b16 a[168:169], v12 offset:3072             // 00000000C5A0: DBC60C00 A800000C
	ds_read_b64_tr_b16 a[170:171], v12 offset:3328             // 00000000C5A8: DBC60D00 AA00000C
	ds_read_b64_tr_b16 a[172:173], v13 offset:3072             // 00000000C5B0: DBC60C00 AC00000D
	ds_read_b64_tr_b16 a[174:175], v13 offset:3328             // 00000000C5B8: DBC60D00 AE00000D
	v_mfma_f32_16x16x32_bf16 v[38:41], a[88:91], a[16:19], v[38:41]// 00000000C5C0: D3B50026 1C9A2158
	ds_read_b64_tr_b16 a[176:177], v12 offset:4096             // 00000000C5C8: DBC61000 B000000C
	ds_read_b64_tr_b16 a[178:179], v12 offset:4352             // 00000000C5D0: DBC61100 B200000C
	ds_read_b64_tr_b16 a[180:181], v13 offset:4096             // 00000000C5D8: DBC61000 B400000D
	ds_read_b64_tr_b16 a[182:183], v13 offset:4352             // 00000000C5E0: DBC61100 B600000D
	v_mfma_f32_16x16x32_bf16 v[38:41], a[92:95], a[20:23], v[38:41]// 00000000C5E8: D3B50026 1C9A295C
	ds_read_b64_tr_b16 a[184:185], v12 offset:5120             // 00000000C5F0: DBC61400 B800000C
	ds_read_b64_tr_b16 a[186:187], v12 offset:5376             // 00000000C5F8: DBC61500 BA00000C
	ds_read_b64_tr_b16 a[188:189], v13 offset:5120             // 00000000C600: DBC61400 BC00000D
	ds_read_b64_tr_b16 a[190:191], v13 offset:5376             // 00000000C608: DBC61500 BE00000D
	v_mfma_f32_16x16x32_bf16 v[38:41], a[96:99], a[24:27], v[38:41]// 00000000C610: D3B50026 1C9A3160
	ds_read_b64_tr_b16 a[192:193], v12 offset:6144             // 00000000C618: DBC61800 C000000C
	ds_read_b64_tr_b16 a[194:195], v12 offset:6400             // 00000000C620: DBC61900 C200000C
	ds_read_b64_tr_b16 a[196:197], v13 offset:6144             // 00000000C628: DBC61800 C400000D
	ds_read_b64_tr_b16 a[198:199], v13 offset:6400             // 00000000C630: DBC61900 C600000D
	v_mfma_f32_16x16x32_bf16 v[38:41], a[100:103], a[28:31], v[38:41]// 00000000C638: D3B50026 1C9A3964
	ds_read_b64_tr_b16 a[200:201], v12 offset:7168             // 00000000C640: DBC61C00 C800000C
	ds_read_b64_tr_b16 a[202:203], v12 offset:7424             // 00000000C648: DBC61D00 CA00000C
	ds_read_b64_tr_b16 a[204:205], v13 offset:7168             // 00000000C650: DBC61C00 CC00000D
	ds_read_b64_tr_b16 a[206:207], v13 offset:7424             // 00000000C658: DBC61D00 CE00000D
	v_mfma_f32_16x16x32_bf16 v[38:41], a[104:107], a[32:35], v[38:41]// 00000000C660: D3B50026 1C9A4168
	v_mfma_f32_16x16x32_bf16 v[38:41], a[108:111], a[36:39], v[38:41]// 00000000C668: D3B50026 1C9A496C
	v_mfma_f32_16x16x32_bf16 v[38:41], a[112:115], a[40:43], v[38:41]// 00000000C670: D3B50026 1C9A5170
	v_mfma_f32_16x16x32_bf16 v[38:41], a[116:119], a[44:47], v[38:41]// 00000000C678: D3B50026 1C9A5974
	v_mfma_f32_16x16x32_bf16 v[38:41], a[120:123], a[48:51], v[38:41]// 00000000C680: D3B50026 1C9A6178
	v_mfma_f32_16x16x32_bf16 v[38:41], a[124:127], a[52:55], v[38:41]// 00000000C688: D3B50026 1C9A697C
	v_mfma_f32_16x16x32_bf16 v[38:41], a[128:131], a[56:59], v[38:41]// 00000000C690: D3B50026 1C9A7180
	v_mfma_f32_16x16x32_bf16 v[38:41], a[132:135], a[60:63], v[38:41]// 00000000C698: D3B50026 1C9A7984
	v_mfma_f32_16x16x32_bf16 v[38:41], a[136:139], a[64:67], v[38:41]// 00000000C6A0: D3B50026 1C9A8188
	v_mfma_f32_16x16x32_bf16 v[38:41], a[140:143], a[68:71], v[38:41]// 00000000C6A8: D3B50026 1C9A898C
	s_nop 8                                                    // 00000000C6B0: BF800008
	s_and_b32 s56, s48, 0xff                                   // 00000000C6B4: 8638FF30 000000FF
	v_mov_b32_e32 v29, s56                                     // 00000000C6BC: 7E3A0238
	v_lshrrev_b32_e32 v18, 4, v0                               // 00000000C6C0: 20240084
	v_mul_i32_i24_e32 v18, 4, v18                              // 00000000C6C4: 0C242484
	v_add_u32_e32 v19, 1, v18                                  // 00000000C6C8: 68262481
	v_add_u32_e32 v20, 2, v18                                  // 00000000C6CC: 68282482
	v_add_u32_e32 v21, 3, v18                                  // 00000000C6D0: 682A2483
	v_mov_b32_e32 v28, 0xff800000                              // 00000000C6D4: 7E3802FF FF800000
	v_cmp_lt_u32_e64 s[36:37], v18, v29                        // 00000000C6DC: D0C90024 00023B12
	v_add_u32_e32 v18, 16, v18                                 // 00000000C6E4: 68242490
	s_nop 0                                                    // 00000000C6E8: BF800000
	v_cndmask_b32_e64 v34, v28, v34, s[36:37]                  // 00000000C6EC: D1000022 0092451C
	v_cmp_lt_u32_e64 s[36:37], v19, v29                        // 00000000C6F4: D0C90024 00023B13
	v_add_u32_e32 v19, 16, v19                                 // 00000000C6FC: 68262690
	s_nop 0                                                    // 00000000C700: BF800000
	v_cndmask_b32_e64 v35, v28, v35, s[36:37]                  // 00000000C704: D1000023 0092471C
	v_cmp_lt_u32_e64 s[36:37], v20, v29                        // 00000000C70C: D0C90024 00023B14
	v_add_u32_e32 v20, 16, v20                                 // 00000000C714: 68282890
	s_nop 0                                                    // 00000000C718: BF800000
	v_cndmask_b32_e64 v36, v28, v36, s[36:37]                  // 00000000C71C: D1000024 0092491C
	v_cmp_lt_u32_e64 s[36:37], v21, v29                        // 00000000C724: D0C90024 00023B15
	v_add_u32_e32 v21, 16, v21                                 // 00000000C72C: 682A2A90
	s_nop 0                                                    // 00000000C730: BF800000
	v_cndmask_b32_e64 v37, v28, v37, s[36:37]                  // 00000000C734: D1000025 00924B1C
	v_cmp_lt_u32_e64 s[36:37], v18, v29                        // 00000000C73C: D0C90024 00023B12
	v_add_u32_e32 v18, 16, v18                                 // 00000000C744: 68242490
	s_nop 0                                                    // 00000000C748: BF800000
	v_cndmask_b32_e64 v38, v28, v38, s[36:37]                  // 00000000C74C: D1000026 00924D1C
	v_cmp_lt_u32_e64 s[36:37], v19, v29                        // 00000000C754: D0C90024 00023B13
	v_add_u32_e32 v19, 16, v19                                 // 00000000C75C: 68262690
	s_nop 0                                                    // 00000000C760: BF800000
	v_cndmask_b32_e64 v39, v28, v39, s[36:37]                  // 00000000C764: D1000027 00924F1C
	v_cmp_lt_u32_e64 s[36:37], v20, v29                        // 00000000C76C: D0C90024 00023B14
	v_add_u32_e32 v20, 16, v20                                 // 00000000C774: 68282890
	s_nop 0                                                    // 00000000C778: BF800000
	v_cndmask_b32_e64 v40, v28, v40, s[36:37]                  // 00000000C77C: D1000028 0092511C
	v_cmp_lt_u32_e64 s[36:37], v21, v29                        // 00000000C784: D0C90024 00023B15
	v_add_u32_e32 v21, 16, v21                                 // 00000000C78C: 682A2A90
	s_nop 0                                                    // 00000000C790: BF800000
	v_cndmask_b32_e64 v41, v28, v41, s[36:37]                  // 00000000C794: D1000029 0092531C
	s_cmp_le_i32 s83, s82                                      // 00000000C79C: BF055253
	s_cbranch_scc1 label_A5AC                                  // 00000000C7A0: BF850042
	v_mov_b32_e32 v28, s82                                     // 00000000C7A4: 7E380252
	s_cmp_eq_i32 s81, 1                                        // 00000000C7A8: BF008151
	s_cbranch_scc1 label_A4C8                                  // 00000000C7AC: BF850006
	s_cmp_eq_i32 s81, 2                                        // 00000000C7B0: BF008251
	s_cbranch_scc1 label_A4C0                                  // 00000000C7B4: BF850002
	v_add_u32_e32 v28, s7, v28                                 // 00000000C7B8: 68383807
	s_branch label_A4C8                                        // 00000000C7BC: BF820002

000000000000c7c0 <label_A4C0>:
	s_lshr_b32 s56, s7, 1                                      // 00000000C7C0: 8F388107
	v_add_u32_e32 v28, s56, v28                                // 00000000C7C4: 68383838

000000000000c7c8 <label_A4C8>:
	s_sub_u32 s56, s83, 31                                     // 00000000C7C8: 80B89F53
	v_lshrrev_b32_e32 v18, 4, v0                               // 00000000C7CC: 20240084
	v_mul_i32_i24_e32 v18, 4, v18                              // 00000000C7D0: 0C242484
	v_add_u32_e32 v18, s56, v18                                // 00000000C7D4: 68242438
	v_add_u32_e32 v19, 1, v18                                  // 00000000C7D8: 68262481
	v_add_u32_e32 v20, 2, v18                                  // 00000000C7DC: 68282482
	v_add_u32_e32 v21, 3, v18                                  // 00000000C7E0: 682A2483
	v_mov_b32_e32 v29, 0xff800000                              // 00000000C7E4: 7E3A02FF FF800000
	v_cmp_le_u32_e64 s[36:37], v18, v28                        // 00000000C7EC: D0CB0024 00023912
	v_add_u32_e32 v18, 16, v18                                 // 00000000C7F4: 68242490
	s_nop 0                                                    // 00000000C7F8: BF800000
	v_cndmask_b32_e64 v34, v29, v34, s[36:37]                  // 00000000C7FC: D1000022 0092451D
	v_cmp_le_u32_e64 s[36:37], v19, v28                        // 00000000C804: D0CB0024 00023913
	v_add_u32_e32 v19, 16, v19                                 // 00000000C80C: 68262690
	s_nop 0                                                    // 00000000C810: BF800000
	v_cndmask_b32_e64 v35, v29, v35, s[36:37]                  // 00000000C814: D1000023 0092471D
	v_cmp_le_u32_e64 s[36:37], v20, v28                        // 00000000C81C: D0CB0024 00023914
	v_add_u32_e32 v20, 16, v20                                 // 00000000C824: 68282890
	s_nop 0                                                    // 00000000C828: BF800000
	v_cndmask_b32_e64 v36, v29, v36, s[36:37]                  // 00000000C82C: D1000024 0092491D
	v_cmp_le_u32_e64 s[36:37], v21, v28                        // 00000000C834: D0CB0024 00023915
	v_add_u32_e32 v21, 16, v21                                 // 00000000C83C: 682A2A90
	s_nop 0                                                    // 00000000C840: BF800000
	v_cndmask_b32_e64 v37, v29, v37, s[36:37]                  // 00000000C844: D1000025 00924B1D
	v_cmp_le_u32_e64 s[36:37], v18, v28                        // 00000000C84C: D0CB0024 00023912
	v_add_u32_e32 v18, 16, v18                                 // 00000000C854: 68242490
	s_nop 0                                                    // 00000000C858: BF800000
	v_cndmask_b32_e64 v38, v29, v38, s[36:37]                  // 00000000C85C: D1000026 00924D1D
	v_cmp_le_u32_e64 s[36:37], v19, v28                        // 00000000C864: D0CB0024 00023913
	v_add_u32_e32 v19, 16, v19                                 // 00000000C86C: 68262690
	s_nop 0                                                    // 00000000C870: BF800000
	v_cndmask_b32_e64 v39, v29, v39, s[36:37]                  // 00000000C874: D1000027 00924F1D
	v_cmp_le_u32_e64 s[36:37], v20, v28                        // 00000000C87C: D0CB0024 00023914
	v_add_u32_e32 v20, 16, v20                                 // 00000000C884: 68282890
	s_nop 0                                                    // 00000000C888: BF800000
	v_cndmask_b32_e64 v40, v29, v40, s[36:37]                  // 00000000C88C: D1000028 0092511D
	v_cmp_le_u32_e64 s[36:37], v21, v28                        // 00000000C894: D0CB0024 00023915
	v_add_u32_e32 v21, 16, v21                                 // 00000000C89C: 682A2A90
	s_nop 0                                                    // 00000000C8A0: BF800000
	v_cndmask_b32_e64 v41, v29, v41, s[36:37]                  // 00000000C8A4: D1000029 0092531D

000000000000c8ac <label_A5AC>:
	s_add_u32 s83, s84, s83                                    // 00000000C8AC: 80535354
	s_nop 2                                                    // 00000000C8B0: BF800002
	v_mov_b32_e32 v29, v34                                     // 00000000C8B4: 7E3A0322
	v_max3_f32 v29, v34, v35, v29                              // 00000000C8B8: D1D3001D 04764722
	v_max3_f32 v29, v36, v37, v29                              // 00000000C8C0: D1D3001D 04764B24
	v_max3_f32 v29, v38, v39, v29                              // 00000000C8C8: D1D3001D 04764F26
	v_max3_f32 v29, v40, v41, v29                              // 00000000C8D0: D1D3001D 04765328
	v_mov_b32_e32 v28, v29                                     // 00000000C8D8: 7E38031D
	v_mov_b32_e32 v29, v29                                     // 00000000C8DC: 7E3A031D
	s_nop 1                                                    // 00000000C8E0: BF800001
	v_permlane16_swap_b32_e32 v28, v29                         // 00000000C8E4: 7E38B31D
	v_mov_b32_e32 v31, v28                                     // 00000000C8E8: 7E3E031C
	v_mov_b32_e32 v30, v29                                     // 00000000C8EC: 7E3C031D
	s_nop 1                                                    // 00000000C8F0: BF800001
	v_permlane32_swap_b32_e32 v28, v29                         // 00000000C8F4: 7E38B51D
	v_permlane32_swap_b32_e32 v30, v31                         // 00000000C8F8: 7E3CB51F
	v_max3_f32 v29, v28, v29, v29                              // 00000000C8FC: D1D3001D 04763B1C
	v_max3_f32 v29, v30, v31, v29                              // 00000000C904: D1D3001D 04763F1E
	v_mov_b32_e32 v28, 0xff800000                              // 00000000C90C: 7E3802FF FF800000
	v_cmp_eq_u32_e64 s[36:37], v28, v2                         // 00000000C914: D0CA0024 0002051C
	v_max_f32_e32 v29, v29, v2                                 // 00000000C91C: 163A051D
	v_sub_f32_e32 v16, v2, v29                                 // 00000000C920: 04203B02
	v_cndmask_b32_e64 v16, v16, 0, s[36:37]                    // 00000000C924: D1000010 00910110
	v_mov_b32_e32 v2, v29                                      // 00000000C92C: 7E04031D
	v_mul_f32_e32 v29, s5, v29                                 // 00000000C930: 0A3A3A05
	v_mul_f32_e32 v16, s5, v16                                 // 00000000C934: 0A202005
	v_exp_f32_e32 v16, v16                                     // 00000000C938: 7E204110
	v_fma_f32 v34, v34, s5, -v29                               // 00000000C93C: D1CB0022 84740B22
	v_fma_f32 v35, v35, s5, -v29                               // 00000000C944: D1CB0023 84740B23
	v_fma_f32 v36, v36, s5, -v29                               // 00000000C94C: D1CB0024 84740B24
	v_fma_f32 v37, v37, s5, -v29                               // 00000000C954: D1CB0025 84740B25
	v_fma_f32 v38, v38, s5, -v29                               // 00000000C95C: D1CB0026 84740B26
	v_fma_f32 v39, v39, s5, -v29                               // 00000000C964: D1CB0027 84740B27
	v_fma_f32 v40, v40, s5, -v29                               // 00000000C96C: D1CB0028 84740B28
	v_fma_f32 v41, v41, s5, -v29                               // 00000000C974: D1CB0029 84740B29
	v_exp_f32_e32 v34, v34                                     // 00000000C97C: 7E444122
	v_exp_f32_e32 v35, v35                                     // 00000000C980: 7E464123
	v_exp_f32_e32 v36, v36                                     // 00000000C984: 7E484124
	v_exp_f32_e32 v37, v37                                     // 00000000C988: 7E4A4125
	v_exp_f32_e32 v38, v38                                     // 00000000C98C: 7E4C4126
	v_exp_f32_e32 v39, v39                                     // 00000000C990: 7E4E4127
	v_exp_f32_e32 v40, v40                                     // 00000000C994: 7E504128
	v_exp_f32_e32 v41, v41                                     // 00000000C998: 7E524129
	v_mul_f32_e32 v4, v16, v4                                  // 00000000C99C: 0A080910
	v_mov_b32_e32 v28, v34                                     // 00000000C9A0: 7E380322
	v_add_f32_e32 v28, v35, v28                                // 00000000C9A4: 02383923
	v_add_f32_e32 v28, v36, v28                                // 00000000C9A8: 02383924
	v_add_f32_e32 v28, v37, v28                                // 00000000C9AC: 02383925
	v_add_f32_e32 v28, v38, v28                                // 00000000C9B0: 02383926
	v_add_f32_e32 v28, v39, v28                                // 00000000C9B4: 02383927
	v_add_f32_e32 v28, v40, v28                                // 00000000C9B8: 02383928
	v_add_f32_e32 v28, v41, v28                                // 00000000C9BC: 02383929
	v_add_f32_e32 v4, v28, v4                                  // 00000000C9C0: 0208091C
	v_cvt_pk_bf16_f32 v34, v34, v35                            // 00000000C9C4: D2680022 00024722
	v_cvt_pk_bf16_f32 v35, v36, v37                            // 00000000C9CC: D2680023 00024B24
	v_cvt_pk_bf16_f32 v36, v38, v39                            // 00000000C9D4: D2680024 00024F26
	v_cvt_pk_bf16_f32 v37, v40, v41                            // 00000000C9DC: D2680025 00025328
	s_nop 0                                                    // 00000000C9E4: BF800000
	v_permlane32_swap_b32_e32 v34, v36                         // 00000000C9E8: 7E44B524
	v_permlane32_swap_b32_e32 v35, v37                         // 00000000C9EC: 7E46B525
	s_nop 0                                                    // 00000000C9F0: BF800000
	v_permlane16_swap_b32_e32 v34, v36                         // 00000000C9F4: 7E44B324
	v_permlane16_swap_b32_e32 v35, v37                         // 00000000C9F8: 7E46B325
	v_mov_b32_e32 v30, v16                                     // 00000000C9FC: 7E3C0310
	v_mov_b32_e32 v31, v16                                     // 00000000CA00: 7E3E0310
	v_pk_mul_f32 v[50:51], v[30:31], v[50:51]                  // 00000000CA04: D3B14032 1802651E
	v_pk_mul_f32 v[52:53], v[30:31], v[52:53]                  // 00000000CA0C: D3B14034 1802691E
	v_pk_mul_f32 v[54:55], v[30:31], v[54:55]                  // 00000000CA14: D3B14036 18026D1E
	v_pk_mul_f32 v[56:57], v[30:31], v[56:57]                  // 00000000CA1C: D3B14038 1802711E
	v_pk_mul_f32 v[58:59], v[30:31], v[58:59]                  // 00000000CA24: D3B1403A 1802751E
	v_pk_mul_f32 v[60:61], v[30:31], v[60:61]                  // 00000000CA2C: D3B1403C 1802791E
	v_pk_mul_f32 v[62:63], v[30:31], v[62:63]                  // 00000000CA34: D3B1403E 18027D1E
	v_pk_mul_f32 v[64:65], v[30:31], v[64:65]                  // 00000000CA3C: D3B14040 1802811E
	v_pk_mul_f32 v[66:67], v[30:31], v[66:67]                  // 00000000CA44: D3B14042 1802851E
	v_pk_mul_f32 v[68:69], v[30:31], v[68:69]                  // 00000000CA4C: D3B14044 1802891E
	v_pk_mul_f32 v[70:71], v[30:31], v[70:71]                  // 00000000CA54: D3B14046 18028D1E
	v_pk_mul_f32 v[72:73], v[30:31], v[72:73]                  // 00000000CA5C: D3B14048 1802911E
	v_pk_mul_f32 v[74:75], v[30:31], v[74:75]                  // 00000000CA64: D3B1404A 1802951E
	v_pk_mul_f32 v[76:77], v[30:31], v[76:77]                  // 00000000CA6C: D3B1404C 1802991E
	v_pk_mul_f32 v[78:79], v[30:31], v[78:79]                  // 00000000CA74: D3B1404E 18029D1E
	v_pk_mul_f32 v[80:81], v[30:31], v[80:81]                  // 00000000CA7C: D3B14050 1802A11E
	v_pk_mul_f32 v[82:83], v[30:31], v[82:83]                  // 00000000CA84: D3B14052 1802A51E
	v_pk_mul_f32 v[84:85], v[30:31], v[84:85]                  // 00000000CA8C: D3B14054 1802A91E
	v_pk_mul_f32 v[86:87], v[30:31], v[86:87]                  // 00000000CA94: D3B14056 1802AD1E
	v_pk_mul_f32 v[88:89], v[30:31], v[88:89]                  // 00000000CA9C: D3B14058 1802B11E
	v_pk_mul_f32 v[90:91], v[30:31], v[90:91]                  // 00000000CAA4: D3B1405A 1802B51E
	v_pk_mul_f32 v[92:93], v[30:31], v[92:93]                  // 00000000CAAC: D3B1405C 1802B91E
	v_pk_mul_f32 v[94:95], v[30:31], v[94:95]                  // 00000000CAB4: D3B1405E 1802BD1E
	v_pk_mul_f32 v[96:97], v[30:31], v[96:97]                  // 00000000CABC: D3B14060 1802C11E
	v_pk_mul_f32 v[98:99], v[30:31], v[98:99]                  // 00000000CAC4: D3B14062 1802C51E
	v_pk_mul_f32 v[100:101], v[30:31], v[100:101]              // 00000000CACC: D3B14064 1802C91E
	v_pk_mul_f32 v[102:103], v[30:31], v[102:103]              // 00000000CAD4: D3B14066 1802CD1E
	v_pk_mul_f32 v[104:105], v[30:31], v[104:105]              // 00000000CADC: D3B14068 1802D11E
	v_pk_mul_f32 v[106:107], v[30:31], v[106:107]              // 00000000CAE4: D3B1406A 1802D51E
	v_pk_mul_f32 v[108:109], v[30:31], v[108:109]              // 00000000CAEC: D3B1406C 1802D91E
	v_pk_mul_f32 v[110:111], v[30:31], v[110:111]              // 00000000CAF4: D3B1406E 1802DD1E
	v_pk_mul_f32 v[112:113], v[30:31], v[112:113]              // 00000000CAFC: D3B14070 1802E11E
	v_pk_mul_f32 v[114:115], v[30:31], v[114:115]              // 00000000CB04: D3B14072 1802E51E
	v_pk_mul_f32 v[116:117], v[30:31], v[116:117]              // 00000000CB0C: D3B14074 1802E91E
	v_pk_mul_f32 v[118:119], v[30:31], v[118:119]              // 00000000CB14: D3B14076 1802ED1E
	v_pk_mul_f32 v[120:121], v[30:31], v[120:121]              // 00000000CB1C: D3B14078 1802F11E
	v_pk_mul_f32 v[122:123], v[30:31], v[122:123]              // 00000000CB24: D3B1407A 1802F51E
	v_pk_mul_f32 v[124:125], v[30:31], v[124:125]              // 00000000CB2C: D3B1407C 1802F91E
	v_pk_mul_f32 v[126:127], v[30:31], v[126:127]              // 00000000CB34: D3B1407E 1802FD1E
	v_pk_mul_f32 v[128:129], v[30:31], v[128:129]              // 00000000CB3C: D3B14080 1803011E
	v_pk_mul_f32 v[130:131], v[30:31], v[130:131]              // 00000000CB44: D3B14082 1803051E
	v_pk_mul_f32 v[132:133], v[30:31], v[132:133]              // 00000000CB4C: D3B14084 1803091E
	v_pk_mul_f32 v[134:135], v[30:31], v[134:135]              // 00000000CB54: D3B14086 18030D1E
	v_pk_mul_f32 v[136:137], v[30:31], v[136:137]              // 00000000CB5C: D3B14088 1803111E
	v_pk_mul_f32 v[138:139], v[30:31], v[138:139]              // 00000000CB64: D3B1408A 1803151E
	v_pk_mul_f32 v[140:141], v[30:31], v[140:141]              // 00000000CB6C: D3B1408C 1803191E
	v_pk_mul_f32 v[142:143], v[30:31], v[142:143]              // 00000000CB74: D3B1408E 18031D1E
	v_pk_mul_f32 v[144:145], v[30:31], v[144:145]              // 00000000CB7C: D3B14090 1803211E
	v_pk_mul_f32 v[146:147], v[30:31], v[146:147]              // 00000000CB84: D3B14092 1803251E
	v_pk_mul_f32 v[148:149], v[30:31], v[148:149]              // 00000000CB8C: D3B14094 1803291E
	v_pk_mul_f32 v[150:151], v[30:31], v[150:151]              // 00000000CB94: D3B14096 18032D1E
	v_pk_mul_f32 v[152:153], v[30:31], v[152:153]              // 00000000CB9C: D3B14098 1803311E
	v_pk_mul_f32 v[154:155], v[30:31], v[154:155]              // 00000000CBA4: D3B1409A 1803351E
	v_pk_mul_f32 v[156:157], v[30:31], v[156:157]              // 00000000CBAC: D3B1409C 1803391E
	v_pk_mul_f32 v[158:159], v[30:31], v[158:159]              // 00000000CBB4: D3B1409E 18033D1E
	v_pk_mul_f32 v[160:161], v[30:31], v[160:161]              // 00000000CBBC: D3B140A0 1803411E
	v_pk_mul_f32 v[162:163], v[30:31], v[162:163]              // 00000000CBC4: D3B140A2 1803451E
	v_pk_mul_f32 v[164:165], v[30:31], v[164:165]              // 00000000CBCC: D3B140A4 1803491E
	v_pk_mul_f32 v[166:167], v[30:31], v[166:167]              // 00000000CBD4: D3B140A6 18034D1E
	v_pk_mul_f32 v[168:169], v[30:31], v[168:169]              // 00000000CBDC: D3B140A8 1803511E
	v_pk_mul_f32 v[170:171], v[30:31], v[170:171]              // 00000000CBE4: D3B140AA 1803551E
	v_pk_mul_f32 v[172:173], v[30:31], v[172:173]              // 00000000CBEC: D3B140AC 1803591E
	v_pk_mul_f32 v[174:175], v[30:31], v[174:175]              // 00000000CBF4: D3B140AE 18035D1E
	v_pk_mul_f32 v[176:177], v[30:31], v[176:177]              // 00000000CBFC: D3B140B0 1803611E
	s_waitcnt lgkmcnt(0)                                       // 00000000CC04: BF8CC07F
	v_mfma_f32_16x16x32_bf16 v[50:53], a[144:147], v[34:37], v[50:53]// 00000000CC08: D3B50032 0CCA4590
	v_mfma_f32_16x16x32_bf16 v[54:57], a[148:151], v[34:37], v[54:57]// 00000000CC10: D3B50036 0CDA4594
	v_mfma_f32_16x16x32_bf16 v[58:61], a[152:155], v[34:37], v[58:61]// 00000000CC18: D3B5003A 0CEA4598
	v_mfma_f32_16x16x32_bf16 v[62:65], a[156:159], v[34:37], v[62:65]// 00000000CC20: D3B5003E 0CFA459C
	v_mfma_f32_16x16x32_bf16 v[66:69], a[160:163], v[34:37], v[66:69]// 00000000CC28: D3B50042 0D0A45A0
	v_mfma_f32_16x16x32_bf16 v[70:73], a[164:167], v[34:37], v[70:73]// 00000000CC30: D3B50046 0D1A45A4
	v_mfma_f32_16x16x32_bf16 v[74:77], a[168:171], v[34:37], v[74:77]// 00000000CC38: D3B5004A 0D2A45A8
	v_mfma_f32_16x16x32_bf16 v[78:81], a[172:175], v[34:37], v[78:81]// 00000000CC40: D3B5004E 0D3A45AC
	v_mfma_f32_16x16x32_bf16 v[82:85], a[176:179], v[34:37], v[82:85]// 00000000CC48: D3B50052 0D4A45B0
	v_mfma_f32_16x16x32_bf16 v[86:89], a[180:183], v[34:37], v[86:89]// 00000000CC50: D3B50056 0D5A45B4
	v_mfma_f32_16x16x32_bf16 v[90:93], a[184:187], v[34:37], v[90:93]// 00000000CC58: D3B5005A 0D6A45B8
	ds_read_b64_tr_b16 a[144:145], v12 offset:8192             // 00000000CC60: DBC62000 9000000C
	ds_read_b64_tr_b16 a[146:147], v12 offset:8448             // 00000000CC68: DBC62100 9200000C
	ds_read_b64_tr_b16 a[148:149], v13 offset:8192             // 00000000CC70: DBC62000 9400000D
	ds_read_b64_tr_b16 a[150:151], v13 offset:8448             // 00000000CC78: DBC62100 9600000D
	v_mfma_f32_16x16x32_bf16 v[94:97], a[188:191], v[34:37], v[94:97]// 00000000CC80: D3B5005E 0D7A45BC
	ds_read_b64_tr_b16 a[152:153], v12 offset:9216             // 00000000CC88: DBC62400 9800000C
	ds_read_b64_tr_b16 a[154:155], v12 offset:9472             // 00000000CC90: DBC62500 9A00000C
	ds_read_b64_tr_b16 a[156:157], v13 offset:9216             // 00000000CC98: DBC62400 9C00000D
	ds_read_b64_tr_b16 a[158:159], v13 offset:9472             // 00000000CCA0: DBC62500 9E00000D
	v_mfma_f32_16x16x32_bf16 v[98:101], a[192:195], v[34:37], v[98:101]// 00000000CCA8: D3B50062 0D8A45C0
	ds_read_b64_tr_b16 a[160:161], v12 offset:10240            // 00000000CCB0: DBC62800 A000000C
	ds_read_b64_tr_b16 a[162:163], v12 offset:10496            // 00000000CCB8: DBC62900 A200000C
	ds_read_b64_tr_b16 a[164:165], v13 offset:10240            // 00000000CCC0: DBC62800 A400000D
	ds_read_b64_tr_b16 a[166:167], v13 offset:10496            // 00000000CCC8: DBC62900 A600000D
	v_mfma_f32_16x16x32_bf16 v[102:105], a[196:199], v[34:37], v[102:105]// 00000000CCD0: D3B50066 0D9A45C4
	ds_read_b64_tr_b16 a[168:169], v12 offset:11264            // 00000000CCD8: DBC62C00 A800000C
	ds_read_b64_tr_b16 a[170:171], v12 offset:11520            // 00000000CCE0: DBC62D00 AA00000C
	ds_read_b64_tr_b16 a[172:173], v13 offset:11264            // 00000000CCE8: DBC62C00 AC00000D
	ds_read_b64_tr_b16 a[174:175], v13 offset:11520            // 00000000CCF0: DBC62D00 AE00000D
	v_mfma_f32_16x16x32_bf16 v[106:109], a[200:203], v[34:37], v[106:109]// 00000000CCF8: D3B5006A 0DAA45C8
	ds_read_b64_tr_b16 a[176:177], v12 offset:12288            // 00000000CD00: DBC63000 B000000C
	ds_read_b64_tr_b16 a[178:179], v12 offset:12544            // 00000000CD08: DBC63100 B200000C
	ds_read_b64_tr_b16 a[180:181], v13 offset:12288            // 00000000CD10: DBC63000 B400000D
	ds_read_b64_tr_b16 a[182:183], v13 offset:12544            // 00000000CD18: DBC63100 B600000D
	v_mfma_f32_16x16x32_bf16 v[110:113], a[204:207], v[34:37], v[110:113]// 00000000CD20: D3B5006E 0DBA45CC
	ds_read_b64_tr_b16 a[184:185], v12 offset:13312            // 00000000CD28: DBC63400 B800000C
	ds_read_b64_tr_b16 a[186:187], v12 offset:13568            // 00000000CD30: DBC63500 BA00000C
	ds_read_b64_tr_b16 a[188:189], v13 offset:13312            // 00000000CD38: DBC63400 BC00000D
	ds_read_b64_tr_b16 a[190:191], v13 offset:13568            // 00000000CD40: DBC63500 BE00000D
	ds_read_b64_tr_b16 a[192:193], v12 offset:14336            // 00000000CD48: DBC63800 C000000C
	ds_read_b64_tr_b16 a[194:195], v12 offset:14592            // 00000000CD50: DBC63900 C200000C
	ds_read_b64_tr_b16 a[196:197], v13 offset:14336            // 00000000CD58: DBC63800 C400000D
	ds_read_b64_tr_b16 a[198:199], v13 offset:14592            // 00000000CD60: DBC63900 C600000D
	ds_read_b64_tr_b16 a[200:201], v12 offset:15360            // 00000000CD68: DBC63C00 C800000C
	ds_read_b64_tr_b16 a[202:203], v12 offset:15616            // 00000000CD70: DBC63D00 CA00000C
	ds_read_b64_tr_b16 a[204:205], v13 offset:15360            // 00000000CD78: DBC63C00 CC00000D
	ds_read_b64_tr_b16 a[206:207], v13 offset:15616            // 00000000CD80: DBC63D00 CE00000D
	s_waitcnt lgkmcnt(0)                                       // 00000000CD88: BF8CC07F
	v_mfma_f32_16x16x32_bf16 v[114:117], a[144:147], v[34:37], v[114:117]// 00000000CD8C: D3B50072 0DCA4590
	v_mfma_f32_16x16x32_bf16 v[118:121], a[148:151], v[34:37], v[118:121]// 00000000CD94: D3B50076 0DDA4594
	v_mfma_f32_16x16x32_bf16 v[122:125], a[152:155], v[34:37], v[122:125]// 00000000CD9C: D3B5007A 0DEA4598
	v_mfma_f32_16x16x32_bf16 v[126:129], a[156:159], v[34:37], v[126:129]// 00000000CDA4: D3B5007E 0DFA459C
	v_mfma_f32_16x16x32_bf16 v[130:133], a[160:163], v[34:37], v[130:133]// 00000000CDAC: D3B50082 0E0A45A0
	v_mfma_f32_16x16x32_bf16 v[134:137], a[164:167], v[34:37], v[134:137]// 00000000CDB4: D3B50086 0E1A45A4
	v_mfma_f32_16x16x32_bf16 v[138:141], a[168:171], v[34:37], v[138:141]// 00000000CDBC: D3B5008A 0E2A45A8
	v_mfma_f32_16x16x32_bf16 v[142:145], a[172:175], v[34:37], v[142:145]// 00000000CDC4: D3B5008E 0E3A45AC
	v_mfma_f32_16x16x32_bf16 v[146:149], a[176:179], v[34:37], v[146:149]// 00000000CDCC: D3B50092 0E4A45B0
	v_mfma_f32_16x16x32_bf16 v[150:153], a[180:183], v[34:37], v[150:153]// 00000000CDD4: D3B50096 0E5A45B4
	v_mfma_f32_16x16x32_bf16 v[154:157], a[184:187], v[34:37], v[154:157]// 00000000CDDC: D3B5009A 0E6A45B8
	v_mfma_f32_16x16x32_bf16 v[158:161], a[188:191], v[34:37], v[158:161]// 00000000CDE4: D3B5009E 0E7A45BC
	v_mfma_f32_16x16x32_bf16 v[162:165], a[192:195], v[34:37], v[162:165]// 00000000CDEC: D3B500A2 0E8A45C0
	v_mfma_f32_16x16x32_bf16 v[166:169], a[196:199], v[34:37], v[166:169]// 00000000CDF4: D3B500A6 0E9A45C4
	v_mfma_f32_16x16x32_bf16 v[170:173], a[200:203], v[34:37], v[170:173]// 00000000CDFC: D3B500AA 0EAA45C8
	v_mfma_f32_16x16x32_bf16 v[174:177], a[204:207], v[34:37], v[174:177]// 00000000CE04: D3B500AE 0EBA45CC
	s_nop 8                                                    // 00000000CE0C: BF800008
	s_branch label_B738                                        // 00000000CE10: BF820287

000000000000ce14 <label_AB14>:
	s_waitcnt lgkmcnt(0)                                       // 00000000CE14: BF8CC07F
	v_mfma_f32_16x16x32_bf16 v[42:45], a[72:75], a[0:3], 0     // 00000000CE18: D3B5002A 1A020148
	v_mfma_f32_16x16x32_bf16 v[42:45], a[76:79], a[4:7], v[42:45]// 00000000CE20: D3B5002A 1CAA094C
	v_mfma_f32_16x16x32_bf16 v[42:45], a[80:83], a[8:11], v[42:45]// 00000000CE28: D3B5002A 1CAA1150
	v_mfma_f32_16x16x32_bf16 v[42:45], a[84:87], a[12:15], v[42:45]// 00000000CE30: D3B5002A 1CAA1954
	v_mfma_f32_16x16x32_bf16 v[42:45], a[88:91], a[16:19], v[42:45]// 00000000CE38: D3B5002A 1CAA2158
	v_mfma_f32_16x16x32_bf16 v[42:45], a[92:95], a[20:23], v[42:45]// 00000000CE40: D3B5002A 1CAA295C
	v_mfma_f32_16x16x32_bf16 v[42:45], a[96:99], a[24:27], v[42:45]// 00000000CE48: D3B5002A 1CAA3160
	v_mfma_f32_16x16x32_bf16 v[42:45], a[100:103], a[28:31], v[42:45]// 00000000CE50: D3B5002A 1CAA3964
	ds_read_b128 a[72:75], v21 offset:18432                    // 00000000CE58: DBFE4800 48000015
	ds_read_b128 a[76:79], v21 offset:19456                    // 00000000CE60: DBFE4C00 4C000015
	v_mfma_f32_16x16x32_bf16 v[42:45], a[104:107], a[32:35], v[42:45]// 00000000CE68: D3B5002A 1CAA4168
	v_mfma_f32_16x16x32_bf16 v[42:45], a[108:111], a[36:39], v[42:45]// 00000000CE70: D3B5002A 1CAA496C
	ds_read_b128 a[80:83], v21 offset:20480                    // 00000000CE78: DBFE5000 50000015
	ds_read_b128 a[84:87], v21 offset:21504                    // 00000000CE80: DBFE5400 54000015
	v_mfma_f32_16x16x32_bf16 v[42:45], a[112:115], a[40:43], v[42:45]// 00000000CE88: D3B5002A 1CAA5170
	v_mfma_f32_16x16x32_bf16 v[42:45], a[116:119], a[44:47], v[42:45]// 00000000CE90: D3B5002A 1CAA5974
	ds_read_b128 a[88:91], v21 offset:22528                    // 00000000CE98: DBFE5800 58000015
	ds_read_b128 a[92:95], v21 offset:23552                    // 00000000CEA0: DBFE5C00 5C000015
	v_mfma_f32_16x16x32_bf16 v[42:45], a[120:123], a[48:51], v[42:45]// 00000000CEA8: D3B5002A 1CAA6178
	v_mfma_f32_16x16x32_bf16 v[42:45], a[124:127], a[52:55], v[42:45]// 00000000CEB0: D3B5002A 1CAA697C
	ds_read_b128 a[96:99], v21 offset:24576                    // 00000000CEB8: DBFE6000 60000015
	ds_read_b128 a[100:103], v21 offset:25600                  // 00000000CEC0: DBFE6400 64000015
	v_mfma_f32_16x16x32_bf16 v[42:45], a[128:131], a[56:59], v[42:45]// 00000000CEC8: D3B5002A 1CAA7180
	v_mfma_f32_16x16x32_bf16 v[42:45], a[132:135], a[60:63], v[42:45]// 00000000CED0: D3B5002A 1CAA7984
	ds_read_b128 a[104:107], v21 offset:26624                  // 00000000CED8: DBFE6800 68000015
	ds_read_b128 a[108:111], v21 offset:27648                  // 00000000CEE0: DBFE6C00 6C000015
	v_mfma_f32_16x16x32_bf16 v[42:45], a[136:139], a[64:67], v[42:45]// 00000000CEE8: D3B5002A 1CAA8188
	v_mfma_f32_16x16x32_bf16 v[42:45], a[140:143], a[68:71], v[42:45]// 00000000CEF0: D3B5002A 1CAA898C
	ds_read_b128 a[112:115], v21 offset:28672                  // 00000000CEF8: DBFE7000 70000015
	ds_read_b128 a[116:119], v21 offset:29696                  // 00000000CF00: DBFE7400 74000015
	ds_read_b128 a[120:123], v21 offset:30720                  // 00000000CF08: DBFE7800 78000015
	ds_read_b128 a[124:127], v21 offset:31744                  // 00000000CF10: DBFE7C00 7C000015
	ds_read_b128 a[128:131], v21 offset:32768                  // 00000000CF18: DBFE8000 80000015
	ds_read_b128 a[132:135], v21 offset:33792                  // 00000000CF20: DBFE8400 84000015
	ds_read_b128 a[136:139], v21 offset:34816                  // 00000000CF28: DBFE8800 88000015
	ds_read_b128 a[140:143], v21 offset:35840                  // 00000000CF30: DBFE8C00 8C000015
	s_waitcnt lgkmcnt(0)                                       // 00000000CF38: BF8CC07F
	v_mfma_f32_16x16x32_bf16 v[46:49], a[72:75], a[0:3], 0     // 00000000CF3C: D3B5002E 1A020148
	ds_read_b64_tr_b16 a[144:145], v14                         // 00000000CF44: DBC60000 9000000E
	ds_read_b64_tr_b16 a[146:147], v14 offset:256              // 00000000CF4C: DBC60100 9200000E
	ds_read_b64_tr_b16 a[148:149], v15                         // 00000000CF54: DBC60000 9400000F
	ds_read_b64_tr_b16 a[150:151], v15 offset:256              // 00000000CF5C: DBC60100 9600000F
	v_mfma_f32_16x16x32_bf16 v[46:49], a[76:79], a[4:7], v[46:49]// 00000000CF64: D3B5002E 1CBA094C
	ds_read_b64_tr_b16 a[152:153], v14 offset:1024             // 00000000CF6C: DBC60400 9800000E
	ds_read_b64_tr_b16 a[154:155], v14 offset:1280             // 00000000CF74: DBC60500 9A00000E
	ds_read_b64_tr_b16 a[156:157], v15 offset:1024             // 00000000CF7C: DBC60400 9C00000F
	ds_read_b64_tr_b16 a[158:159], v15 offset:1280             // 00000000CF84: DBC60500 9E00000F
	v_mfma_f32_16x16x32_bf16 v[46:49], a[80:83], a[8:11], v[46:49]// 00000000CF8C: D3B5002E 1CBA1150
	ds_read_b64_tr_b16 a[160:161], v14 offset:2048             // 00000000CF94: DBC60800 A000000E
	ds_read_b64_tr_b16 a[162:163], v14 offset:2304             // 00000000CF9C: DBC60900 A200000E
	ds_read_b64_tr_b16 a[164:165], v15 offset:2048             // 00000000CFA4: DBC60800 A400000F
	ds_read_b64_tr_b16 a[166:167], v15 offset:2304             // 00000000CFAC: DBC60900 A600000F
	v_mfma_f32_16x16x32_bf16 v[46:49], a[84:87], a[12:15], v[46:49]// 00000000CFB4: D3B5002E 1CBA1954
	ds_read_b64_tr_b16 a[168:169], v14 offset:3072             // 00000000CFBC: DBC60C00 A800000E
	ds_read_b64_tr_b16 a[170:171], v14 offset:3328             // 00000000CFC4: DBC60D00 AA00000E
	ds_read_b64_tr_b16 a[172:173], v15 offset:3072             // 00000000CFCC: DBC60C00 AC00000F
	ds_read_b64_tr_b16 a[174:175], v15 offset:3328             // 00000000CFD4: DBC60D00 AE00000F
	v_mfma_f32_16x16x32_bf16 v[46:49], a[88:91], a[16:19], v[46:49]// 00000000CFDC: D3B5002E 1CBA2158
	ds_read_b64_tr_b16 a[176:177], v14 offset:4096             // 00000000CFE4: DBC61000 B000000E
	ds_read_b64_tr_b16 a[178:179], v14 offset:4352             // 00000000CFEC: DBC61100 B200000E
	ds_read_b64_tr_b16 a[180:181], v15 offset:4096             // 00000000CFF4: DBC61000 B400000F
	ds_read_b64_tr_b16 a[182:183], v15 offset:4352             // 00000000CFFC: DBC61100 B600000F
	v_mfma_f32_16x16x32_bf16 v[46:49], a[92:95], a[20:23], v[46:49]// 00000000D004: D3B5002E 1CBA295C
	ds_read_b64_tr_b16 a[184:185], v14 offset:5120             // 00000000D00C: DBC61400 B800000E
	ds_read_b64_tr_b16 a[186:187], v14 offset:5376             // 00000000D014: DBC61500 BA00000E
	ds_read_b64_tr_b16 a[188:189], v15 offset:5120             // 00000000D01C: DBC61400 BC00000F
	ds_read_b64_tr_b16 a[190:191], v15 offset:5376             // 00000000D024: DBC61500 BE00000F
	v_mfma_f32_16x16x32_bf16 v[46:49], a[96:99], a[24:27], v[46:49]// 00000000D02C: D3B5002E 1CBA3160
	ds_read_b64_tr_b16 a[192:193], v14 offset:6144             // 00000000D034: DBC61800 C000000E
	ds_read_b64_tr_b16 a[194:195], v14 offset:6400             // 00000000D03C: DBC61900 C200000E
	ds_read_b64_tr_b16 a[196:197], v15 offset:6144             // 00000000D044: DBC61800 C400000F
	ds_read_b64_tr_b16 a[198:199], v15 offset:6400             // 00000000D04C: DBC61900 C600000F
	v_mfma_f32_16x16x32_bf16 v[46:49], a[100:103], a[28:31], v[46:49]// 00000000D054: D3B5002E 1CBA3964
	ds_read_b64_tr_b16 a[200:201], v14 offset:7168             // 00000000D05C: DBC61C00 C800000E
	ds_read_b64_tr_b16 a[202:203], v14 offset:7424             // 00000000D064: DBC61D00 CA00000E
	ds_read_b64_tr_b16 a[204:205], v15 offset:7168             // 00000000D06C: DBC61C00 CC00000F
	ds_read_b64_tr_b16 a[206:207], v15 offset:7424             // 00000000D074: DBC61D00 CE00000F
	v_mfma_f32_16x16x32_bf16 v[46:49], a[104:107], a[32:35], v[46:49]// 00000000D07C: D3B5002E 1CBA4168
	v_mfma_f32_16x16x32_bf16 v[46:49], a[108:111], a[36:39], v[46:49]// 00000000D084: D3B5002E 1CBA496C
	v_mfma_f32_16x16x32_bf16 v[46:49], a[112:115], a[40:43], v[46:49]// 00000000D08C: D3B5002E 1CBA5170
	v_mfma_f32_16x16x32_bf16 v[46:49], a[116:119], a[44:47], v[46:49]// 00000000D094: D3B5002E 1CBA5974
	v_mfma_f32_16x16x32_bf16 v[46:49], a[120:123], a[48:51], v[46:49]// 00000000D09C: D3B5002E 1CBA6178
	v_mfma_f32_16x16x32_bf16 v[46:49], a[124:127], a[52:55], v[46:49]// 00000000D0A4: D3B5002E 1CBA697C
	v_mfma_f32_16x16x32_bf16 v[46:49], a[128:131], a[56:59], v[46:49]// 00000000D0AC: D3B5002E 1CBA7180
	v_mfma_f32_16x16x32_bf16 v[46:49], a[132:135], a[60:63], v[46:49]// 00000000D0B4: D3B5002E 1CBA7984
	v_mfma_f32_16x16x32_bf16 v[46:49], a[136:139], a[64:67], v[46:49]// 00000000D0BC: D3B5002E 1CBA8188
	v_mfma_f32_16x16x32_bf16 v[46:49], a[140:143], a[68:71], v[46:49]// 00000000D0C4: D3B5002E 1CBA898C
	s_nop 8                                                    // 00000000D0CC: BF800008
	s_and_b32 s56, s48, 0xff                                   // 00000000D0D0: 8638FF30 000000FF
	v_mov_b32_e32 v29, s56                                     // 00000000D0D8: 7E3A0238
	v_lshrrev_b32_e32 v18, 4, v0                               // 00000000D0DC: 20240084
	v_mul_i32_i24_e32 v18, 4, v18                              // 00000000D0E0: 0C242484
	v_add_u32_e32 v19, 1, v18                                  // 00000000D0E4: 68262481
	v_add_u32_e32 v20, 2, v18                                  // 00000000D0E8: 68282482
	v_add_u32_e32 v21, 3, v18                                  // 00000000D0EC: 682A2483
	v_mov_b32_e32 v28, 0xff800000                              // 00000000D0F0: 7E3802FF FF800000
	v_cmp_lt_u32_e64 s[36:37], v18, v29                        // 00000000D0F8: D0C90024 00023B12
	v_add_u32_e32 v18, 16, v18                                 // 00000000D100: 68242490
	s_nop 0                                                    // 00000000D104: BF800000
	v_cndmask_b32_e64 v42, v28, v42, s[36:37]                  // 00000000D108: D100002A 0092551C
	v_cmp_lt_u32_e64 s[36:37], v19, v29                        // 00000000D110: D0C90024 00023B13
	v_add_u32_e32 v19, 16, v19                                 // 00000000D118: 68262690
	s_nop 0                                                    // 00000000D11C: BF800000
	v_cndmask_b32_e64 v43, v28, v43, s[36:37]                  // 00000000D120: D100002B 0092571C
	v_cmp_lt_u32_e64 s[36:37], v20, v29                        // 00000000D128: D0C90024 00023B14
	v_add_u32_e32 v20, 16, v20                                 // 00000000D130: 68282890
	s_nop 0                                                    // 00000000D134: BF800000
	v_cndmask_b32_e64 v44, v28, v44, s[36:37]                  // 00000000D138: D100002C 0092591C
	v_cmp_lt_u32_e64 s[36:37], v21, v29                        // 00000000D140: D0C90024 00023B15
	v_add_u32_e32 v21, 16, v21                                 // 00000000D148: 682A2A90
	s_nop 0                                                    // 00000000D14C: BF800000
	v_cndmask_b32_e64 v45, v28, v45, s[36:37]                  // 00000000D150: D100002D 00925B1C
	v_cmp_lt_u32_e64 s[36:37], v18, v29                        // 00000000D158: D0C90024 00023B12
	v_add_u32_e32 v18, 16, v18                                 // 00000000D160: 68242490
	s_nop 0                                                    // 00000000D164: BF800000
	v_cndmask_b32_e64 v46, v28, v46, s[36:37]                  // 00000000D168: D100002E 00925D1C
	v_cmp_lt_u32_e64 s[36:37], v19, v29                        // 00000000D170: D0C90024 00023B13
	v_add_u32_e32 v19, 16, v19                                 // 00000000D178: 68262690
	s_nop 0                                                    // 00000000D17C: BF800000
	v_cndmask_b32_e64 v47, v28, v47, s[36:37]                  // 00000000D180: D100002F 00925F1C
	v_cmp_lt_u32_e64 s[36:37], v20, v29                        // 00000000D188: D0C90024 00023B14
	v_add_u32_e32 v20, 16, v20                                 // 00000000D190: 68282890
	s_nop 0                                                    // 00000000D194: BF800000
	v_cndmask_b32_e64 v48, v28, v48, s[36:37]                  // 00000000D198: D1000030 0092611C
	v_cmp_lt_u32_e64 s[36:37], v21, v29                        // 00000000D1A0: D0C90024 00023B15
	v_add_u32_e32 v21, 16, v21                                 // 00000000D1A8: 682A2A90
	s_nop 0                                                    // 00000000D1AC: BF800000
	v_cndmask_b32_e64 v49, v28, v49, s[36:37]                  // 00000000D1B0: D1000031 0092631C
	s_cmp_le_i32 s83, s82                                      // 00000000D1B8: BF055253
	s_cbranch_scc1 label_AFC8                                  // 00000000D1BC: BF850042
	v_mov_b32_e32 v28, s82                                     // 00000000D1C0: 7E380252
	s_cmp_eq_i32 s81, 1                                        // 00000000D1C4: BF008151
	s_cbranch_scc1 label_AEE4                                  // 00000000D1C8: BF850006
	s_cmp_eq_i32 s81, 2                                        // 00000000D1CC: BF008251
	s_cbranch_scc1 label_AEDC                                  // 00000000D1D0: BF850002
	v_add_u32_e32 v28, s7, v28                                 // 00000000D1D4: 68383807
	s_branch label_AEE4                                        // 00000000D1D8: BF820002

000000000000d1dc <label_AEDC>:
	s_lshr_b32 s56, s7, 1                                      // 00000000D1DC: 8F388107
	v_add_u32_e32 v28, s56, v28                                // 00000000D1E0: 68383838

000000000000d1e4 <label_AEE4>:
	s_sub_u32 s56, s83, 31                                     // 00000000D1E4: 80B89F53
	v_lshrrev_b32_e32 v18, 4, v0                               // 00000000D1E8: 20240084
	v_mul_i32_i24_e32 v18, 4, v18                              // 00000000D1EC: 0C242484
	v_add_u32_e32 v18, s56, v18                                // 00000000D1F0: 68242438
	v_add_u32_e32 v19, 1, v18                                  // 00000000D1F4: 68262481
	v_add_u32_e32 v20, 2, v18                                  // 00000000D1F8: 68282482
	v_add_u32_e32 v21, 3, v18                                  // 00000000D1FC: 682A2483
	v_mov_b32_e32 v29, 0xff800000                              // 00000000D200: 7E3A02FF FF800000
	v_cmp_le_u32_e64 s[36:37], v18, v28                        // 00000000D208: D0CB0024 00023912
	v_add_u32_e32 v18, 16, v18                                 // 00000000D210: 68242490
	s_nop 0                                                    // 00000000D214: BF800000
	v_cndmask_b32_e64 v42, v29, v42, s[36:37]                  // 00000000D218: D100002A 0092551D
	v_cmp_le_u32_e64 s[36:37], v19, v28                        // 00000000D220: D0CB0024 00023913
	v_add_u32_e32 v19, 16, v19                                 // 00000000D228: 68262690
	s_nop 0                                                    // 00000000D22C: BF800000
	v_cndmask_b32_e64 v43, v29, v43, s[36:37]                  // 00000000D230: D100002B 0092571D
	v_cmp_le_u32_e64 s[36:37], v20, v28                        // 00000000D238: D0CB0024 00023914
	v_add_u32_e32 v20, 16, v20                                 // 00000000D240: 68282890
	s_nop 0                                                    // 00000000D244: BF800000
	v_cndmask_b32_e64 v44, v29, v44, s[36:37]                  // 00000000D248: D100002C 0092591D
	v_cmp_le_u32_e64 s[36:37], v21, v28                        // 00000000D250: D0CB0024 00023915
	v_add_u32_e32 v21, 16, v21                                 // 00000000D258: 682A2A90
	s_nop 0                                                    // 00000000D25C: BF800000
	v_cndmask_b32_e64 v45, v29, v45, s[36:37]                  // 00000000D260: D100002D 00925B1D
	v_cmp_le_u32_e64 s[36:37], v18, v28                        // 00000000D268: D0CB0024 00023912
	v_add_u32_e32 v18, 16, v18                                 // 00000000D270: 68242490
	s_nop 0                                                    // 00000000D274: BF800000
	v_cndmask_b32_e64 v46, v29, v46, s[36:37]                  // 00000000D278: D100002E 00925D1D
	v_cmp_le_u32_e64 s[36:37], v19, v28                        // 00000000D280: D0CB0024 00023913
	v_add_u32_e32 v19, 16, v19                                 // 00000000D288: 68262690
	s_nop 0                                                    // 00000000D28C: BF800000
	v_cndmask_b32_e64 v47, v29, v47, s[36:37]                  // 00000000D290: D100002F 00925F1D
	v_cmp_le_u32_e64 s[36:37], v20, v28                        // 00000000D298: D0CB0024 00023914
	v_add_u32_e32 v20, 16, v20                                 // 00000000D2A0: 68282890
	s_nop 0                                                    // 00000000D2A4: BF800000
	v_cndmask_b32_e64 v48, v29, v48, s[36:37]                  // 00000000D2A8: D1000030 0092611D
	v_cmp_le_u32_e64 s[36:37], v21, v28                        // 00000000D2B0: D0CB0024 00023915
	v_add_u32_e32 v21, 16, v21                                 // 00000000D2B8: 682A2A90
	s_nop 0                                                    // 00000000D2BC: BF800000
	v_cndmask_b32_e64 v49, v29, v49, s[36:37]                  // 00000000D2C0: D1000031 0092631D

000000000000d2c8 <label_AFC8>:
	s_add_u32 s83, s84, s83                                    // 00000000D2C8: 80535354
	s_nop 2                                                    // 00000000D2CC: BF800002
	v_mov_b32_e32 v29, v42                                     // 00000000D2D0: 7E3A032A
	v_max3_f32 v29, v42, v43, v29                              // 00000000D2D4: D1D3001D 0476572A
	v_max3_f32 v29, v44, v45, v29                              // 00000000D2DC: D1D3001D 04765B2C
	v_max3_f32 v29, v46, v47, v29                              // 00000000D2E4: D1D3001D 04765F2E
	v_max3_f32 v29, v48, v49, v29                              // 00000000D2EC: D1D3001D 04766330
	v_mov_b32_e32 v28, v29                                     // 00000000D2F4: 7E38031D
	v_mov_b32_e32 v29, v29                                     // 00000000D2F8: 7E3A031D
	s_nop 1                                                    // 00000000D2FC: BF800001
	v_permlane16_swap_b32_e32 v28, v29                         // 00000000D300: 7E38B31D
	v_mov_b32_e32 v31, v28                                     // 00000000D304: 7E3E031C
	v_mov_b32_e32 v30, v29                                     // 00000000D308: 7E3C031D
	s_nop 1                                                    // 00000000D30C: BF800001
	v_permlane32_swap_b32_e32 v28, v29                         // 00000000D310: 7E38B51D
	v_permlane32_swap_b32_e32 v30, v31                         // 00000000D314: 7E3CB51F
	v_max3_f32 v29, v28, v29, v29                              // 00000000D318: D1D3001D 04763B1C
	v_max3_f32 v29, v30, v31, v29                              // 00000000D320: D1D3001D 04763F1E
	v_mov_b32_e32 v28, 0xff800000                              // 00000000D328: 7E3802FF FF800000
	v_cmp_eq_u32_e64 s[36:37], v28, v2                         // 00000000D330: D0CA0024 0002051C
	v_max_f32_e32 v29, v29, v2                                 // 00000000D338: 163A051D
	v_sub_f32_e32 v16, v2, v29                                 // 00000000D33C: 04203B02
	v_cndmask_b32_e64 v16, v16, 0, s[36:37]                    // 00000000D340: D1000010 00910110
	v_mov_b32_e32 v2, v29                                      // 00000000D348: 7E04031D
	v_mul_f32_e32 v29, s5, v29                                 // 00000000D34C: 0A3A3A05
	v_mul_f32_e32 v16, s5, v16                                 // 00000000D350: 0A202005
	v_exp_f32_e32 v16, v16                                     // 00000000D354: 7E204110
	v_fma_f32 v42, v42, s5, -v29                               // 00000000D358: D1CB002A 84740B2A
	v_fma_f32 v43, v43, s5, -v29                               // 00000000D360: D1CB002B 84740B2B
	v_fma_f32 v44, v44, s5, -v29                               // 00000000D368: D1CB002C 84740B2C
	v_fma_f32 v45, v45, s5, -v29                               // 00000000D370: D1CB002D 84740B2D
	v_fma_f32 v46, v46, s5, -v29                               // 00000000D378: D1CB002E 84740B2E
	v_fma_f32 v47, v47, s5, -v29                               // 00000000D380: D1CB002F 84740B2F
	v_fma_f32 v48, v48, s5, -v29                               // 00000000D388: D1CB0030 84740B30
	v_fma_f32 v49, v49, s5, -v29                               // 00000000D390: D1CB0031 84740B31
	v_exp_f32_e32 v42, v42                                     // 00000000D398: 7E54412A
	v_exp_f32_e32 v43, v43                                     // 00000000D39C: 7E56412B
	v_exp_f32_e32 v44, v44                                     // 00000000D3A0: 7E58412C
	v_exp_f32_e32 v45, v45                                     // 00000000D3A4: 7E5A412D
	v_exp_f32_e32 v46, v46                                     // 00000000D3A8: 7E5C412E
	v_exp_f32_e32 v47, v47                                     // 00000000D3AC: 7E5E412F
	v_exp_f32_e32 v48, v48                                     // 00000000D3B0: 7E604130
	v_exp_f32_e32 v49, v49                                     // 00000000D3B4: 7E624131
	v_mul_f32_e32 v4, v16, v4                                  // 00000000D3B8: 0A080910
	v_mov_b32_e32 v28, v42                                     // 00000000D3BC: 7E38032A
	v_add_f32_e32 v28, v43, v28                                // 00000000D3C0: 0238392B
	v_add_f32_e32 v28, v44, v28                                // 00000000D3C4: 0238392C
	v_add_f32_e32 v28, v45, v28                                // 00000000D3C8: 0238392D
	v_add_f32_e32 v28, v46, v28                                // 00000000D3CC: 0238392E
	v_add_f32_e32 v28, v47, v28                                // 00000000D3D0: 0238392F
	v_add_f32_e32 v28, v48, v28                                // 00000000D3D4: 02383930
	v_add_f32_e32 v28, v49, v28                                // 00000000D3D8: 02383931
	v_add_f32_e32 v4, v28, v4                                  // 00000000D3DC: 0208091C
	v_cvt_pk_bf16_f32 v42, v42, v43                            // 00000000D3E0: D268002A 0002572A
	v_cvt_pk_bf16_f32 v43, v44, v45                            // 00000000D3E8: D268002B 00025B2C
	v_cvt_pk_bf16_f32 v44, v46, v47                            // 00000000D3F0: D268002C 00025F2E
	v_cvt_pk_bf16_f32 v45, v48, v49                            // 00000000D3F8: D268002D 00026330
	s_nop 0                                                    // 00000000D400: BF800000
	v_permlane32_swap_b32_e32 v42, v44                         // 00000000D404: 7E54B52C
	v_permlane32_swap_b32_e32 v43, v45                         // 00000000D408: 7E56B52D
	s_nop 0                                                    // 00000000D40C: BF800000
	v_permlane16_swap_b32_e32 v42, v44                         // 00000000D410: 7E54B32C
	v_permlane16_swap_b32_e32 v43, v45                         // 00000000D414: 7E56B32D
	v_mov_b32_e32 v30, v16                                     // 00000000D418: 7E3C0310
	v_mov_b32_e32 v31, v16                                     // 00000000D41C: 7E3E0310
	v_pk_mul_f32 v[50:51], v[30:31], v[50:51]                  // 00000000D420: D3B14032 1802651E
	v_pk_mul_f32 v[52:53], v[30:31], v[52:53]                  // 00000000D428: D3B14034 1802691E
	v_pk_mul_f32 v[54:55], v[30:31], v[54:55]                  // 00000000D430: D3B14036 18026D1E
	v_pk_mul_f32 v[56:57], v[30:31], v[56:57]                  // 00000000D438: D3B14038 1802711E
	v_pk_mul_f32 v[58:59], v[30:31], v[58:59]                  // 00000000D440: D3B1403A 1802751E
	v_pk_mul_f32 v[60:61], v[30:31], v[60:61]                  // 00000000D448: D3B1403C 1802791E
	v_pk_mul_f32 v[62:63], v[30:31], v[62:63]                  // 00000000D450: D3B1403E 18027D1E
	v_pk_mul_f32 v[64:65], v[30:31], v[64:65]                  // 00000000D458: D3B14040 1802811E
	v_pk_mul_f32 v[66:67], v[30:31], v[66:67]                  // 00000000D460: D3B14042 1802851E
	v_pk_mul_f32 v[68:69], v[30:31], v[68:69]                  // 00000000D468: D3B14044 1802891E
	v_pk_mul_f32 v[70:71], v[30:31], v[70:71]                  // 00000000D470: D3B14046 18028D1E
	v_pk_mul_f32 v[72:73], v[30:31], v[72:73]                  // 00000000D478: D3B14048 1802911E
	v_pk_mul_f32 v[74:75], v[30:31], v[74:75]                  // 00000000D480: D3B1404A 1802951E
	v_pk_mul_f32 v[76:77], v[30:31], v[76:77]                  // 00000000D488: D3B1404C 1802991E
	v_pk_mul_f32 v[78:79], v[30:31], v[78:79]                  // 00000000D490: D3B1404E 18029D1E
	v_pk_mul_f32 v[80:81], v[30:31], v[80:81]                  // 00000000D498: D3B14050 1802A11E
	v_pk_mul_f32 v[82:83], v[30:31], v[82:83]                  // 00000000D4A0: D3B14052 1802A51E
	v_pk_mul_f32 v[84:85], v[30:31], v[84:85]                  // 00000000D4A8: D3B14054 1802A91E
	v_pk_mul_f32 v[86:87], v[30:31], v[86:87]                  // 00000000D4B0: D3B14056 1802AD1E
	v_pk_mul_f32 v[88:89], v[30:31], v[88:89]                  // 00000000D4B8: D3B14058 1802B11E
	v_pk_mul_f32 v[90:91], v[30:31], v[90:91]                  // 00000000D4C0: D3B1405A 1802B51E
	v_pk_mul_f32 v[92:93], v[30:31], v[92:93]                  // 00000000D4C8: D3B1405C 1802B91E
	v_pk_mul_f32 v[94:95], v[30:31], v[94:95]                  // 00000000D4D0: D3B1405E 1802BD1E
	v_pk_mul_f32 v[96:97], v[30:31], v[96:97]                  // 00000000D4D8: D3B14060 1802C11E
	v_pk_mul_f32 v[98:99], v[30:31], v[98:99]                  // 00000000D4E0: D3B14062 1802C51E
	v_pk_mul_f32 v[100:101], v[30:31], v[100:101]              // 00000000D4E8: D3B14064 1802C91E
	v_pk_mul_f32 v[102:103], v[30:31], v[102:103]              // 00000000D4F0: D3B14066 1802CD1E
	v_pk_mul_f32 v[104:105], v[30:31], v[104:105]              // 00000000D4F8: D3B14068 1802D11E
	v_pk_mul_f32 v[106:107], v[30:31], v[106:107]              // 00000000D500: D3B1406A 1802D51E
	v_pk_mul_f32 v[108:109], v[30:31], v[108:109]              // 00000000D508: D3B1406C 1802D91E
	v_pk_mul_f32 v[110:111], v[30:31], v[110:111]              // 00000000D510: D3B1406E 1802DD1E
	v_pk_mul_f32 v[112:113], v[30:31], v[112:113]              // 00000000D518: D3B14070 1802E11E
	v_pk_mul_f32 v[114:115], v[30:31], v[114:115]              // 00000000D520: D3B14072 1802E51E
	v_pk_mul_f32 v[116:117], v[30:31], v[116:117]              // 00000000D528: D3B14074 1802E91E
	v_pk_mul_f32 v[118:119], v[30:31], v[118:119]              // 00000000D530: D3B14076 1802ED1E
	v_pk_mul_f32 v[120:121], v[30:31], v[120:121]              // 00000000D538: D3B14078 1802F11E
	v_pk_mul_f32 v[122:123], v[30:31], v[122:123]              // 00000000D540: D3B1407A 1802F51E
	v_pk_mul_f32 v[124:125], v[30:31], v[124:125]              // 00000000D548: D3B1407C 1802F91E
	v_pk_mul_f32 v[126:127], v[30:31], v[126:127]              // 00000000D550: D3B1407E 1802FD1E
	v_pk_mul_f32 v[128:129], v[30:31], v[128:129]              // 00000000D558: D3B14080 1803011E
	v_pk_mul_f32 v[130:131], v[30:31], v[130:131]              // 00000000D560: D3B14082 1803051E
	v_pk_mul_f32 v[132:133], v[30:31], v[132:133]              // 00000000D568: D3B14084 1803091E
	v_pk_mul_f32 v[134:135], v[30:31], v[134:135]              // 00000000D570: D3B14086 18030D1E
	v_pk_mul_f32 v[136:137], v[30:31], v[136:137]              // 00000000D578: D3B14088 1803111E
	v_pk_mul_f32 v[138:139], v[30:31], v[138:139]              // 00000000D580: D3B1408A 1803151E
	v_pk_mul_f32 v[140:141], v[30:31], v[140:141]              // 00000000D588: D3B1408C 1803191E
	v_pk_mul_f32 v[142:143], v[30:31], v[142:143]              // 00000000D590: D3B1408E 18031D1E
	v_pk_mul_f32 v[144:145], v[30:31], v[144:145]              // 00000000D598: D3B14090 1803211E
	v_pk_mul_f32 v[146:147], v[30:31], v[146:147]              // 00000000D5A0: D3B14092 1803251E
	v_pk_mul_f32 v[148:149], v[30:31], v[148:149]              // 00000000D5A8: D3B14094 1803291E
	v_pk_mul_f32 v[150:151], v[30:31], v[150:151]              // 00000000D5B0: D3B14096 18032D1E
	v_pk_mul_f32 v[152:153], v[30:31], v[152:153]              // 00000000D5B8: D3B14098 1803311E
	v_pk_mul_f32 v[154:155], v[30:31], v[154:155]              // 00000000D5C0: D3B1409A 1803351E
	v_pk_mul_f32 v[156:157], v[30:31], v[156:157]              // 00000000D5C8: D3B1409C 1803391E
	v_pk_mul_f32 v[158:159], v[30:31], v[158:159]              // 00000000D5D0: D3B1409E 18033D1E
	v_pk_mul_f32 v[160:161], v[30:31], v[160:161]              // 00000000D5D8: D3B140A0 1803411E
	v_pk_mul_f32 v[162:163], v[30:31], v[162:163]              // 00000000D5E0: D3B140A2 1803451E
	v_pk_mul_f32 v[164:165], v[30:31], v[164:165]              // 00000000D5E8: D3B140A4 1803491E
	v_pk_mul_f32 v[166:167], v[30:31], v[166:167]              // 00000000D5F0: D3B140A6 18034D1E
	v_pk_mul_f32 v[168:169], v[30:31], v[168:169]              // 00000000D5F8: D3B140A8 1803511E
	v_pk_mul_f32 v[170:171], v[30:31], v[170:171]              // 00000000D600: D3B140AA 1803551E
	v_pk_mul_f32 v[172:173], v[30:31], v[172:173]              // 00000000D608: D3B140AC 1803591E
	v_pk_mul_f32 v[174:175], v[30:31], v[174:175]              // 00000000D610: D3B140AE 18035D1E
	v_pk_mul_f32 v[176:177], v[30:31], v[176:177]              // 00000000D618: D3B140B0 1803611E
	s_waitcnt lgkmcnt(0)                                       // 00000000D620: BF8CC07F
	v_mfma_f32_16x16x32_bf16 v[50:53], a[144:147], v[42:45], v[50:53]// 00000000D624: D3B50032 0CCA5590
	v_mfma_f32_16x16x32_bf16 v[54:57], a[148:151], v[42:45], v[54:57]// 00000000D62C: D3B50036 0CDA5594
	v_mfma_f32_16x16x32_bf16 v[58:61], a[152:155], v[42:45], v[58:61]// 00000000D634: D3B5003A 0CEA5598
	v_mfma_f32_16x16x32_bf16 v[62:65], a[156:159], v[42:45], v[62:65]// 00000000D63C: D3B5003E 0CFA559C
	v_mfma_f32_16x16x32_bf16 v[66:69], a[160:163], v[42:45], v[66:69]// 00000000D644: D3B50042 0D0A55A0
	v_mfma_f32_16x16x32_bf16 v[70:73], a[164:167], v[42:45], v[70:73]// 00000000D64C: D3B50046 0D1A55A4
	v_mfma_f32_16x16x32_bf16 v[74:77], a[168:171], v[42:45], v[74:77]// 00000000D654: D3B5004A 0D2A55A8
	v_mfma_f32_16x16x32_bf16 v[78:81], a[172:175], v[42:45], v[78:81]// 00000000D65C: D3B5004E 0D3A55AC
	v_mfma_f32_16x16x32_bf16 v[82:85], a[176:179], v[42:45], v[82:85]// 00000000D664: D3B50052 0D4A55B0
	v_mfma_f32_16x16x32_bf16 v[86:89], a[180:183], v[42:45], v[86:89]// 00000000D66C: D3B50056 0D5A55B4
	v_mfma_f32_16x16x32_bf16 v[90:93], a[184:187], v[42:45], v[90:93]// 00000000D674: D3B5005A 0D6A55B8
	ds_read_b64_tr_b16 a[144:145], v14 offset:8192             // 00000000D67C: DBC62000 9000000E
	ds_read_b64_tr_b16 a[146:147], v14 offset:8448             // 00000000D684: DBC62100 9200000E
	ds_read_b64_tr_b16 a[148:149], v15 offset:8192             // 00000000D68C: DBC62000 9400000F
	ds_read_b64_tr_b16 a[150:151], v15 offset:8448             // 00000000D694: DBC62100 9600000F
	v_mfma_f32_16x16x32_bf16 v[94:97], a[188:191], v[42:45], v[94:97]// 00000000D69C: D3B5005E 0D7A55BC
	ds_read_b64_tr_b16 a[152:153], v14 offset:9216             // 00000000D6A4: DBC62400 9800000E
	ds_read_b64_tr_b16 a[154:155], v14 offset:9472             // 00000000D6AC: DBC62500 9A00000E
	ds_read_b64_tr_b16 a[156:157], v15 offset:9216             // 00000000D6B4: DBC62400 9C00000F
	ds_read_b64_tr_b16 a[158:159], v15 offset:9472             // 00000000D6BC: DBC62500 9E00000F
	v_mfma_f32_16x16x32_bf16 v[98:101], a[192:195], v[42:45], v[98:101]// 00000000D6C4: D3B50062 0D8A55C0
	ds_read_b64_tr_b16 a[160:161], v14 offset:10240            // 00000000D6CC: DBC62800 A000000E
	ds_read_b64_tr_b16 a[162:163], v14 offset:10496            // 00000000D6D4: DBC62900 A200000E
	ds_read_b64_tr_b16 a[164:165], v15 offset:10240            // 00000000D6DC: DBC62800 A400000F
	ds_read_b64_tr_b16 a[166:167], v15 offset:10496            // 00000000D6E4: DBC62900 A600000F
	v_mfma_f32_16x16x32_bf16 v[102:105], a[196:199], v[42:45], v[102:105]// 00000000D6EC: D3B50066 0D9A55C4
	ds_read_b64_tr_b16 a[168:169], v14 offset:11264            // 00000000D6F4: DBC62C00 A800000E
	ds_read_b64_tr_b16 a[170:171], v14 offset:11520            // 00000000D6FC: DBC62D00 AA00000E
	ds_read_b64_tr_b16 a[172:173], v15 offset:11264            // 00000000D704: DBC62C00 AC00000F
	ds_read_b64_tr_b16 a[174:175], v15 offset:11520            // 00000000D70C: DBC62D00 AE00000F
	v_mfma_f32_16x16x32_bf16 v[106:109], a[200:203], v[42:45], v[106:109]// 00000000D714: D3B5006A 0DAA55C8
	ds_read_b64_tr_b16 a[176:177], v14 offset:12288            // 00000000D71C: DBC63000 B000000E
	ds_read_b64_tr_b16 a[178:179], v14 offset:12544            // 00000000D724: DBC63100 B200000E
	ds_read_b64_tr_b16 a[180:181], v15 offset:12288            // 00000000D72C: DBC63000 B400000F
	ds_read_b64_tr_b16 a[182:183], v15 offset:12544            // 00000000D734: DBC63100 B600000F
	v_mfma_f32_16x16x32_bf16 v[110:113], a[204:207], v[42:45], v[110:113]// 00000000D73C: D3B5006E 0DBA55CC
	ds_read_b64_tr_b16 a[184:185], v14 offset:13312            // 00000000D744: DBC63400 B800000E
	ds_read_b64_tr_b16 a[186:187], v14 offset:13568            // 00000000D74C: DBC63500 BA00000E
	ds_read_b64_tr_b16 a[188:189], v15 offset:13312            // 00000000D754: DBC63400 BC00000F
	ds_read_b64_tr_b16 a[190:191], v15 offset:13568            // 00000000D75C: DBC63500 BE00000F
	ds_read_b64_tr_b16 a[192:193], v14 offset:14336            // 00000000D764: DBC63800 C000000E
	ds_read_b64_tr_b16 a[194:195], v14 offset:14592            // 00000000D76C: DBC63900 C200000E
	ds_read_b64_tr_b16 a[196:197], v15 offset:14336            // 00000000D774: DBC63800 C400000F
	ds_read_b64_tr_b16 a[198:199], v15 offset:14592            // 00000000D77C: DBC63900 C600000F
	ds_read_b64_tr_b16 a[200:201], v14 offset:15360            // 00000000D784: DBC63C00 C800000E
	ds_read_b64_tr_b16 a[202:203], v14 offset:15616            // 00000000D78C: DBC63D00 CA00000E
	ds_read_b64_tr_b16 a[204:205], v15 offset:15360            // 00000000D794: DBC63C00 CC00000F
	ds_read_b64_tr_b16 a[206:207], v15 offset:15616            // 00000000D79C: DBC63D00 CE00000F
	s_waitcnt lgkmcnt(0)                                       // 00000000D7A4: BF8CC07F
	v_mfma_f32_16x16x32_bf16 v[114:117], a[144:147], v[42:45], v[114:117]// 00000000D7A8: D3B50072 0DCA5590
	v_mfma_f32_16x16x32_bf16 v[118:121], a[148:151], v[42:45], v[118:121]// 00000000D7B0: D3B50076 0DDA5594
	v_mfma_f32_16x16x32_bf16 v[122:125], a[152:155], v[42:45], v[122:125]// 00000000D7B8: D3B5007A 0DEA5598
	v_mfma_f32_16x16x32_bf16 v[126:129], a[156:159], v[42:45], v[126:129]// 00000000D7C0: D3B5007E 0DFA559C
	v_mfma_f32_16x16x32_bf16 v[130:133], a[160:163], v[42:45], v[130:133]// 00000000D7C8: D3B50082 0E0A55A0
	v_mfma_f32_16x16x32_bf16 v[134:137], a[164:167], v[42:45], v[134:137]// 00000000D7D0: D3B50086 0E1A55A4
	v_mfma_f32_16x16x32_bf16 v[138:141], a[168:171], v[42:45], v[138:141]// 00000000D7D8: D3B5008A 0E2A55A8
	v_mfma_f32_16x16x32_bf16 v[142:145], a[172:175], v[42:45], v[142:145]// 00000000D7E0: D3B5008E 0E3A55AC
	v_mfma_f32_16x16x32_bf16 v[146:149], a[176:179], v[42:45], v[146:149]// 00000000D7E8: D3B50092 0E4A55B0
	v_mfma_f32_16x16x32_bf16 v[150:153], a[180:183], v[42:45], v[150:153]// 00000000D7F0: D3B50096 0E5A55B4
	v_mfma_f32_16x16x32_bf16 v[154:157], a[184:187], v[42:45], v[154:157]// 00000000D7F8: D3B5009A 0E6A55B8
	v_mfma_f32_16x16x32_bf16 v[158:161], a[188:191], v[42:45], v[158:161]// 00000000D800: D3B5009E 0E7A55BC
	v_mfma_f32_16x16x32_bf16 v[162:165], a[192:195], v[42:45], v[162:165]// 00000000D808: D3B500A2 0E8A55C0
	v_mfma_f32_16x16x32_bf16 v[166:169], a[196:199], v[42:45], v[166:169]// 00000000D810: D3B500A6 0E9A55C4
	v_mfma_f32_16x16x32_bf16 v[170:173], a[200:203], v[42:45], v[170:173]// 00000000D818: D3B500AA 0EAA55C8
	v_mfma_f32_16x16x32_bf16 v[174:177], a[204:207], v[42:45], v[174:177]// 00000000D820: D3B500AE 0EBA55CC
	s_nop 8                                                    // 00000000D828: BF800008
	s_branch label_B738                                        // 00000000D82C: BF820000

000000000000d830 <label_B738>:
	v_mov_b32_e32 v28, v4                                      // 00000000D830: 7E380304
	v_mov_b32_e32 v29, v4                                      // 00000000D834: 7E3A0304
	s_nop 1                                                    // 00000000D838: BF800001
	v_permlane16_swap_b32_e32 v28, v29                         // 00000000D83C: 7E38B31D
	v_mov_b32_e32 v31, v28                                     // 00000000D840: 7E3E031C
	v_mov_b32_e32 v30, v29                                     // 00000000D844: 7E3C031D
	s_nop 1                                                    // 00000000D848: BF800001
	v_permlane32_swap_b32_e32 v28, v29                         // 00000000D84C: 7E38B51D
	v_permlane32_swap_b32_e32 v30, v31                         // 00000000D850: 7E3CB51F
	v_mov_b32_e32 v4, 0                                        // 00000000D854: 7E080280
	v_add_f32_e32 v4, v28, v4                                  // 00000000D858: 0208091C
	v_add_f32_e32 v4, v29, v4                                  // 00000000D85C: 0208091D
	v_add_f32_e32 v4, v30, v4                                  // 00000000D860: 0208091E
	v_add_f32_e32 v4, v31, v4                                  // 00000000D864: 0208091F
	v_mov_b32_e32 v28, 0                                       // 00000000D868: 7E380280
	v_cmp_eq_u32_e64 s[36:37], v28, v4                         // 00000000D86C: D0CA0024 0002091C
	v_mul_f32_e64 v28, v2, s64                                 // 00000000D874: D105001C 00008102
	v_log_f32_e32 v29, v4                                      // 00000000D87C: 7E3A4304
	s_nop 1                                                    // 00000000D880: BF800001
	v_rcp_f32_e32 v4, v4                                       // 00000000D884: 7E084504
	s_nop 1                                                    // 00000000D888: BF800001
	v_fma_f32 v1, v29, s63, v28                                // 00000000D88C: D1CB0001 04707F1D
	v_mul_f32_e32 v50, v4, v50                                 // 00000000D894: 0A646504
	v_mul_f32_e32 v51, v4, v51                                 // 00000000D898: 0A666704
	v_mul_f32_e32 v52, v4, v52                                 // 00000000D89C: 0A686904
	v_mul_f32_e32 v53, v4, v53                                 // 00000000D8A0: 0A6A6B04
	v_mul_f32_e32 v54, v4, v54                                 // 00000000D8A4: 0A6C6D04
	v_mul_f32_e32 v55, v4, v55                                 // 00000000D8A8: 0A6E6F04
	v_mul_f32_e32 v56, v4, v56                                 // 00000000D8AC: 0A707104
	v_mul_f32_e32 v57, v4, v57                                 // 00000000D8B0: 0A727304
	v_mul_f32_e32 v58, v4, v58                                 // 00000000D8B4: 0A747504
	v_mul_f32_e32 v59, v4, v59                                 // 00000000D8B8: 0A767704
	v_mul_f32_e32 v60, v4, v60                                 // 00000000D8BC: 0A787904
	v_mul_f32_e32 v61, v4, v61                                 // 00000000D8C0: 0A7A7B04
	v_mul_f32_e32 v62, v4, v62                                 // 00000000D8C4: 0A7C7D04
	v_mul_f32_e32 v63, v4, v63                                 // 00000000D8C8: 0A7E7F04
	v_mul_f32_e32 v64, v4, v64                                 // 00000000D8CC: 0A808104
	v_mul_f32_e32 v65, v4, v65                                 // 00000000D8D0: 0A828304
	v_mul_f32_e32 v66, v4, v66                                 // 00000000D8D4: 0A848504
	v_mul_f32_e32 v67, v4, v67                                 // 00000000D8D8: 0A868704
	v_mul_f32_e32 v68, v4, v68                                 // 00000000D8DC: 0A888904
	v_mul_f32_e32 v69, v4, v69                                 // 00000000D8E0: 0A8A8B04
	v_mul_f32_e32 v70, v4, v70                                 // 00000000D8E4: 0A8C8D04
	v_mul_f32_e32 v71, v4, v71                                 // 00000000D8E8: 0A8E8F04
	v_mul_f32_e32 v72, v4, v72                                 // 00000000D8EC: 0A909104
	v_mul_f32_e32 v73, v4, v73                                 // 00000000D8F0: 0A929304
	v_mul_f32_e32 v74, v4, v74                                 // 00000000D8F4: 0A949504
	v_mul_f32_e32 v75, v4, v75                                 // 00000000D8F8: 0A969704
	v_mul_f32_e32 v76, v4, v76                                 // 00000000D8FC: 0A989904
	v_mul_f32_e32 v77, v4, v77                                 // 00000000D900: 0A9A9B04
	v_mul_f32_e32 v78, v4, v78                                 // 00000000D904: 0A9C9D04
	v_mul_f32_e32 v79, v4, v79                                 // 00000000D908: 0A9E9F04
	v_mul_f32_e32 v80, v4, v80                                 // 00000000D90C: 0AA0A104
	v_mul_f32_e32 v81, v4, v81                                 // 00000000D910: 0AA2A304
	v_mul_f32_e32 v82, v4, v82                                 // 00000000D914: 0AA4A504
	v_mul_f32_e32 v83, v4, v83                                 // 00000000D918: 0AA6A704
	v_mul_f32_e32 v84, v4, v84                                 // 00000000D91C: 0AA8A904
	v_mul_f32_e32 v85, v4, v85                                 // 00000000D920: 0AAAAB04
	v_mul_f32_e32 v86, v4, v86                                 // 00000000D924: 0AACAD04
	v_mul_f32_e32 v87, v4, v87                                 // 00000000D928: 0AAEAF04
	v_mul_f32_e32 v88, v4, v88                                 // 00000000D92C: 0AB0B104
	v_mul_f32_e32 v89, v4, v89                                 // 00000000D930: 0AB2B304
	v_mul_f32_e32 v90, v4, v90                                 // 00000000D934: 0AB4B504
	v_mul_f32_e32 v91, v4, v91                                 // 00000000D938: 0AB6B704
	v_mul_f32_e32 v92, v4, v92                                 // 00000000D93C: 0AB8B904
	v_mul_f32_e32 v93, v4, v93                                 // 00000000D940: 0ABABB04
	v_mul_f32_e32 v94, v4, v94                                 // 00000000D944: 0ABCBD04
	v_mul_f32_e32 v95, v4, v95                                 // 00000000D948: 0ABEBF04
	v_mul_f32_e32 v96, v4, v96                                 // 00000000D94C: 0AC0C104
	v_mul_f32_e32 v97, v4, v97                                 // 00000000D950: 0AC2C304
	v_mul_f32_e32 v98, v4, v98                                 // 00000000D954: 0AC4C504
	v_mul_f32_e32 v99, v4, v99                                 // 00000000D958: 0AC6C704
	v_mul_f32_e32 v100, v4, v100                               // 00000000D95C: 0AC8C904
	v_mul_f32_e32 v101, v4, v101                               // 00000000D960: 0ACACB04
	v_mul_f32_e32 v102, v4, v102                               // 00000000D964: 0ACCCD04
	v_mul_f32_e32 v103, v4, v103                               // 00000000D968: 0ACECF04
	v_mul_f32_e32 v104, v4, v104                               // 00000000D96C: 0AD0D104
	v_mul_f32_e32 v105, v4, v105                               // 00000000D970: 0AD2D304
	v_mul_f32_e32 v106, v4, v106                               // 00000000D974: 0AD4D504
	v_mul_f32_e32 v107, v4, v107                               // 00000000D978: 0AD6D704
	v_mul_f32_e32 v108, v4, v108                               // 00000000D97C: 0AD8D904
	v_mul_f32_e32 v109, v4, v109                               // 00000000D980: 0ADADB04
	v_mul_f32_e32 v110, v4, v110                               // 00000000D984: 0ADCDD04
	v_mul_f32_e32 v111, v4, v111                               // 00000000D988: 0ADEDF04
	v_mul_f32_e32 v112, v4, v112                               // 00000000D98C: 0AE0E104
	v_mul_f32_e32 v113, v4, v113                               // 00000000D990: 0AE2E304
	v_mul_f32_e32 v114, v4, v114                               // 00000000D994: 0AE4E504
	v_mul_f32_e32 v115, v4, v115                               // 00000000D998: 0AE6E704
	v_mul_f32_e32 v116, v4, v116                               // 00000000D99C: 0AE8E904
	v_mul_f32_e32 v117, v4, v117                               // 00000000D9A0: 0AEAEB04
	v_mul_f32_e32 v118, v4, v118                               // 00000000D9A4: 0AECED04
	v_mul_f32_e32 v119, v4, v119                               // 00000000D9A8: 0AEEEF04
	v_mul_f32_e32 v120, v4, v120                               // 00000000D9AC: 0AF0F104
	v_mul_f32_e32 v121, v4, v121                               // 00000000D9B0: 0AF2F304
	v_mul_f32_e32 v122, v4, v122                               // 00000000D9B4: 0AF4F504
	v_mul_f32_e32 v123, v4, v123                               // 00000000D9B8: 0AF6F704
	v_mul_f32_e32 v124, v4, v124                               // 00000000D9BC: 0AF8F904
	v_mul_f32_e32 v125, v4, v125                               // 00000000D9C0: 0AFAFB04
	v_mul_f32_e32 v126, v4, v126                               // 00000000D9C4: 0AFCFD04
	v_mul_f32_e32 v127, v4, v127                               // 00000000D9C8: 0AFEFF04
	v_mul_f32_e32 v128, v4, v128                               // 00000000D9CC: 0B010104
	v_mul_f32_e32 v129, v4, v129                               // 00000000D9D0: 0B030304
	v_mul_f32_e32 v130, v4, v130                               // 00000000D9D4: 0B050504
	v_mul_f32_e32 v131, v4, v131                               // 00000000D9D8: 0B070704
	v_mul_f32_e32 v132, v4, v132                               // 00000000D9DC: 0B090904
	v_mul_f32_e32 v133, v4, v133                               // 00000000D9E0: 0B0B0B04
	v_mul_f32_e32 v134, v4, v134                               // 00000000D9E4: 0B0D0D04
	v_mul_f32_e32 v135, v4, v135                               // 00000000D9E8: 0B0F0F04
	v_mul_f32_e32 v136, v4, v136                               // 00000000D9EC: 0B111104
	v_mul_f32_e32 v137, v4, v137                               // 00000000D9F0: 0B131304
	v_mul_f32_e32 v138, v4, v138                               // 00000000D9F4: 0B151504
	v_mul_f32_e32 v139, v4, v139                               // 00000000D9F8: 0B171704
	v_mul_f32_e32 v140, v4, v140                               // 00000000D9FC: 0B191904
	v_mul_f32_e32 v141, v4, v141                               // 00000000DA00: 0B1B1B04
	v_mul_f32_e32 v142, v4, v142                               // 00000000DA04: 0B1D1D04
	v_mul_f32_e32 v143, v4, v143                               // 00000000DA08: 0B1F1F04
	v_mul_f32_e32 v144, v4, v144                               // 00000000DA0C: 0B212104
	v_mul_f32_e32 v145, v4, v145                               // 00000000DA10: 0B232304
	v_mul_f32_e32 v146, v4, v146                               // 00000000DA14: 0B252504
	v_mul_f32_e32 v147, v4, v147                               // 00000000DA18: 0B272704
	v_mul_f32_e32 v148, v4, v148                               // 00000000DA1C: 0B292904
	v_mul_f32_e32 v149, v4, v149                               // 00000000DA20: 0B2B2B04
	v_mul_f32_e32 v150, v4, v150                               // 00000000DA24: 0B2D2D04
	v_mul_f32_e32 v151, v4, v151                               // 00000000DA28: 0B2F2F04
	v_mul_f32_e32 v152, v4, v152                               // 00000000DA2C: 0B313104
	v_mul_f32_e32 v153, v4, v153                               // 00000000DA30: 0B333304
	v_mul_f32_e32 v154, v4, v154                               // 00000000DA34: 0B353504
	v_mul_f32_e32 v155, v4, v155                               // 00000000DA38: 0B373704
	v_mul_f32_e32 v156, v4, v156                               // 00000000DA3C: 0B393904
	v_mul_f32_e32 v157, v4, v157                               // 00000000DA40: 0B3B3B04
	v_mul_f32_e32 v158, v4, v158                               // 00000000DA44: 0B3D3D04
	v_mul_f32_e32 v159, v4, v159                               // 00000000DA48: 0B3F3F04
	v_mul_f32_e32 v160, v4, v160                               // 00000000DA4C: 0B414104
	v_mul_f32_e32 v161, v4, v161                               // 00000000DA50: 0B434304
	v_mul_f32_e32 v162, v4, v162                               // 00000000DA54: 0B454504
	v_mul_f32_e32 v163, v4, v163                               // 00000000DA58: 0B474704
	v_mul_f32_e32 v164, v4, v164                               // 00000000DA5C: 0B494904
	v_mul_f32_e32 v165, v4, v165                               // 00000000DA60: 0B4B4B04
	v_mul_f32_e32 v166, v4, v166                               // 00000000DA64: 0B4D4D04
	v_mul_f32_e32 v167, v4, v167                               // 00000000DA68: 0B4F4F04
	v_mul_f32_e32 v168, v4, v168                               // 00000000DA6C: 0B515104
	v_mul_f32_e32 v169, v4, v169                               // 00000000DA70: 0B535304
	v_mul_f32_e32 v170, v4, v170                               // 00000000DA74: 0B555504
	v_mul_f32_e32 v171, v4, v171                               // 00000000DA78: 0B575704
	v_mul_f32_e32 v172, v4, v172                               // 00000000DA7C: 0B595904
	v_mul_f32_e32 v173, v4, v173                               // 00000000DA80: 0B5B5B04
	v_mul_f32_e32 v174, v4, v174                               // 00000000DA84: 0B5D5D04
	v_mul_f32_e32 v175, v4, v175                               // 00000000DA88: 0B5F5F04
	v_mul_f32_e32 v176, v4, v176                               // 00000000DA8C: 0B616104
	v_mul_f32_e32 v177, v4, v177                               // 00000000DA90: 0B636304
	s_cmp_lt_i32 s87, 0                                        // 00000000DA94: BF048057
	s_cbranch_scc1 label_C0C4                                  // 00000000DA98: BF8501C8
	s_mul_i32 s75, 0x800, s92                                  // 00000000DA9C: 924B5CFF 00000800
	s_mul_i32 s56, s87, s75                                    // 00000000DAA4: 92384B57
	s_add_u32 s8, s56, s8                                      // 00000000DAA8: 80080838
	s_addc_u32 s9, 0, s9                                       // 00000000DAAC: 82090980
	s_mul_i32 s56, s75, s81                                    // 00000000DAB0: 9238514B
	s_mov_b32 s10, s56                                         // 00000000DAB4: BE8A0038
	s_mul_i32 s56, 0x8000, s7                                  // 00000000DAB8: 923807FF 00008000
	v_lshrrev_b32_e32 v28, 5, v0                               // 00000000DAC0: 20380085
	s_mov_b32 s57, 0x800                                       // 00000000DAC4: BEB900FF 00000800
	v_mul_i32_i24_e32 v28, s57, v28                            // 00000000DACC: 0C383839
	v_and_b32_e32 v5, 31, v0                                   // 00000000DAD0: 260A009F
	v_lshlrev_b32_e32 v5, 4, v5                                // 00000000DAD4: 240A0A84
	v_add_u32_e32 v5, v5, v28                                  // 00000000DAD8: 680A3905
	v_add_u32_e64 v5, v5, s56                                  // 00000000DADC: D1340005 00007105
	s_mul_i32 s57, 4, s92                                      // 00000000DAE4: 92395C84
	s_mul_i32 s56, s87, s57                                    // 00000000DAE8: 92383957
	s_add_u32 s12, s56, s12                                    // 00000000DAEC: 800C0C38
	s_addc_u32 s13, 0, s13                                     // 00000000DAF0: 820D0D80
	s_mul_i32 s56, s81, s57                                    // 00000000DAF4: 92383951
	s_mov_b32 s14, s56                                         // 00000000DAF8: BE8E0038
	v_and_b32_e32 v4, 15, v0                                   // 00000000DAFC: 2608008F
	v_lshlrev_b32_e32 v4, 2, v4                                // 00000000DB00: 24080882
	s_mul_i32 s56, s7, 64                                      // 00000000DB04: 9238C007
	v_add_u32_e64 v4, v4, s56                                  // 00000000DB08: D1340004 00007104
	v_mov_b32_e32 v2, v5                                       // 00000000DB10: 7E040305
	s_waitcnt vmcnt(0)                                         // 00000000DB14: BF8C0F70
	s_waitcnt lgkmcnt(0)                                       // 00000000DB18: BF8CC07F
	v_lshlrev_b32_e32 v16, 2, v0                               // 00000000DB1C: 24200082
	s_mul_i32 s56, s7, 0x840                                   // 00000000DB20: 9238FF07 00000840
	v_add_u32_e32 v16, s56, v16                                // 00000000DB28: 68202038
	v_lshlrev_b32_e32 v16, 2, v16                              // 00000000DB2C: 24202082
	v_lshrrev_b32_e32 v28, 5, v0                               // 00000000DB30: 20380085
	v_mul_i32_i24_e32 v3, 4, v28                               // 00000000DB34: 0C063884
	v_and_b32_e32 v28, 31, v0                                  // 00000000DB38: 2638009F
	v_lshrrev_b32_e32 v28, 2, v28                              // 00000000DB3C: 20383882
	v_mul_i32_i24_e32 v28, 8, v28                              // 00000000DB40: 0C383888
	v_add_u32_e32 v3, v28, v3                                  // 00000000DB44: 6806071C
	v_and_b32_e32 v28, 31, v0                                  // 00000000DB48: 2638009F
	v_mul_i32_i24_e32 v28, 64, v28                             // 00000000DB4C: 0C3838C0
	v_add_u32_e32 v3, v28, v3                                  // 00000000DB50: 6806071C
	s_mul_i32 s56, s7, 0x840                                   // 00000000DB54: 9238FF07 00000840
	v_add_u32_e32 v3, s56, v3                                  // 00000000DB5C: 68060638
	v_lshlrev_b32_e32 v3, 2, v3                                // 00000000DB60: 24060682
	s_mul_i32 s56, 0, s94                                      // 00000000DB64: 92385E80
	v_add_u32_e64 v2, v2, s56                                  // 00000000DB68: D1340002 00007102
	v_mov_b32_e32 v28, v50                                     // 00000000DB70: 7E380332
	v_mov_b32_e32 v29, v51                                     // 00000000DB74: 7E3A0333
	v_mov_b32_e32 v30, v52                                     // 00000000DB78: 7E3C0334
	v_mov_b32_e32 v31, v53                                     // 00000000DB7C: 7E3E0335
	ds_write_b128 v16, v[28:31]                                // 00000000DB80: D9BE0000 00001C10
	v_mov_b32_e32 v28, v54                                     // 00000000DB88: 7E380336
	v_mov_b32_e32 v29, v55                                     // 00000000DB8C: 7E3A0337
	v_mov_b32_e32 v30, v56                                     // 00000000DB90: 7E3C0338
	v_mov_b32_e32 v31, v57                                     // 00000000DB94: 7E3E0339
	ds_write_b128 v16, v[28:31] offset:1056                    // 00000000DB98: D9BE0420 00001C10
	v_mov_b32_e32 v28, v58                                     // 00000000DBA0: 7E38033A
	v_mov_b32_e32 v29, v59                                     // 00000000DBA4: 7E3A033B
	v_mov_b32_e32 v30, v60                                     // 00000000DBA8: 7E3C033C
	v_mov_b32_e32 v31, v61                                     // 00000000DBAC: 7E3E033D
	ds_write_b128 v16, v[28:31] offset:2112                    // 00000000DBB0: D9BE0840 00001C10
	v_mov_b32_e32 v28, v62                                     // 00000000DBB8: 7E38033E
	v_mov_b32_e32 v29, v63                                     // 00000000DBBC: 7E3A033F
	v_mov_b32_e32 v30, v64                                     // 00000000DBC0: 7E3C0340
	v_mov_b32_e32 v31, v65                                     // 00000000DBC4: 7E3E0341
	ds_write_b128 v16, v[28:31] offset:3168                    // 00000000DBC8: D9BE0C60 00001C10
	v_mov_b32_e32 v28, v66                                     // 00000000DBD0: 7E380342
	v_mov_b32_e32 v29, v67                                     // 00000000DBD4: 7E3A0343
	v_mov_b32_e32 v30, v68                                     // 00000000DBD8: 7E3C0344
	v_mov_b32_e32 v31, v69                                     // 00000000DBDC: 7E3E0345
	ds_write_b128 v16, v[28:31] offset:4224                    // 00000000DBE0: D9BE1080 00001C10
	v_mov_b32_e32 v28, v70                                     // 00000000DBE8: 7E380346
	v_mov_b32_e32 v29, v71                                     // 00000000DBEC: 7E3A0347
	v_mov_b32_e32 v30, v72                                     // 00000000DBF0: 7E3C0348
	v_mov_b32_e32 v31, v73                                     // 00000000DBF4: 7E3E0349
	ds_write_b128 v16, v[28:31] offset:5280                    // 00000000DBF8: D9BE14A0 00001C10
	v_mov_b32_e32 v28, v74                                     // 00000000DC00: 7E38034A
	v_mov_b32_e32 v29, v75                                     // 00000000DC04: 7E3A034B
	v_mov_b32_e32 v30, v76                                     // 00000000DC08: 7E3C034C
	v_mov_b32_e32 v31, v77                                     // 00000000DC0C: 7E3E034D
	ds_write_b128 v16, v[28:31] offset:6336                    // 00000000DC10: D9BE18C0 00001C10
	v_mov_b32_e32 v28, v78                                     // 00000000DC18: 7E38034E
	v_mov_b32_e32 v29, v79                                     // 00000000DC1C: 7E3A034F
	v_mov_b32_e32 v30, v80                                     // 00000000DC20: 7E3C0350
	v_mov_b32_e32 v31, v81                                     // 00000000DC24: 7E3E0351
	ds_write_b128 v16, v[28:31] offset:7392                    // 00000000DC28: D9BE1CE0 00001C10
	s_waitcnt lgkmcnt(4)                                       // 00000000DC30: BF8CC47F
	ds_read_b128 v[50:53], v3                                  // 00000000DC34: D9FE0000 32000003
	ds_read_b128 v[54:57], v3 offset:32                        // 00000000DC3C: D9FE0020 36000003
	ds_read_b128 v[58:61], v3 offset:64                        // 00000000DC44: D9FE0040 3A000003
	ds_read_b128 v[62:65], v3 offset:96                        // 00000000DC4C: D9FE0060 3E000003
	s_waitcnt lgkmcnt(4)                                       // 00000000DC54: BF8CC47F
	ds_read_b128 v[66:69], v3 offset:128                       // 00000000DC58: D9FE0080 42000003
	ds_read_b128 v[70:73], v3 offset:160                       // 00000000DC60: D9FE00A0 46000003
	ds_read_b128 v[74:77], v3 offset:192                       // 00000000DC68: D9FE00C0 4A000003
	ds_read_b128 v[78:81], v3 offset:224                       // 00000000DC70: D9FE00E0 4E000003
	s_waitcnt lgkmcnt(0)                                       // 00000000DC78: BF8CC07F
	v_mov_b32_e32 v5, v2                                       // 00000000DC7C: 7E0A0302
	buffer_store_dwordx4 v[50:53], v5, s[8:11], 0 offen        // 00000000DC80: E07C1000 80023205
	v_add_u32_e32 v5, 0x1000, v5                               // 00000000DC88: 680A0AFF 00001000
	buffer_store_dwordx4 v[54:57], v5, s[8:11], 0 offen        // 00000000DC90: E07C1000 80023605
	v_add_u32_e32 v5, 0x1000, v5                               // 00000000DC98: 680A0AFF 00001000
	buffer_store_dwordx4 v[58:61], v5, s[8:11], 0 offen        // 00000000DCA0: E07C1000 80023A05
	v_add_u32_e32 v5, 0x1000, v5                               // 00000000DCA8: 680A0AFF 00001000
	buffer_store_dwordx4 v[62:65], v5, s[8:11], 0 offen        // 00000000DCB0: E07C1000 80023E05
	v_add_u32_e32 v5, 0x1000, v5                               // 00000000DCB8: 680A0AFF 00001000
	buffer_store_dwordx4 v[66:69], v5, s[8:11], 0 offen        // 00000000DCC0: E07C1000 80024205
	v_add_u32_e32 v5, 0x1000, v5                               // 00000000DCC8: 680A0AFF 00001000
	buffer_store_dwordx4 v[70:73], v5, s[8:11], 0 offen        // 00000000DCD0: E07C1000 80024605
	v_add_u32_e32 v5, 0x1000, v5                               // 00000000DCD8: 680A0AFF 00001000
	buffer_store_dwordx4 v[74:77], v5, s[8:11], 0 offen        // 00000000DCE0: E07C1000 80024A05
	v_add_u32_e32 v5, 0x1000, v5                               // 00000000DCE8: 680A0AFF 00001000
	buffer_store_dwordx4 v[78:81], v5, s[8:11], 0 offen        // 00000000DCF0: E07C1000 80024E05
	v_add_u32_e32 v5, 0x1000, v5                               // 00000000DCF8: 680A0AFF 00001000
	v_mov_b32_e32 v28, v82                                     // 00000000DD00: 7E380352
	v_mov_b32_e32 v29, v83                                     // 00000000DD04: 7E3A0353
	v_mov_b32_e32 v30, v84                                     // 00000000DD08: 7E3C0354
	v_mov_b32_e32 v31, v85                                     // 00000000DD0C: 7E3E0355
	ds_write_b128 v16, v[28:31]                                // 00000000DD10: D9BE0000 00001C10
	v_mov_b32_e32 v28, v86                                     // 00000000DD18: 7E380356
	v_mov_b32_e32 v29, v87                                     // 00000000DD1C: 7E3A0357
	v_mov_b32_e32 v30, v88                                     // 00000000DD20: 7E3C0358
	v_mov_b32_e32 v31, v89                                     // 00000000DD24: 7E3E0359
	ds_write_b128 v16, v[28:31] offset:1056                    // 00000000DD28: D9BE0420 00001C10
	v_mov_b32_e32 v28, v90                                     // 00000000DD30: 7E38035A
	v_mov_b32_e32 v29, v91                                     // 00000000DD34: 7E3A035B
	v_mov_b32_e32 v30, v92                                     // 00000000DD38: 7E3C035C
	v_mov_b32_e32 v31, v93                                     // 00000000DD3C: 7E3E035D
	ds_write_b128 v16, v[28:31] offset:2112                    // 00000000DD40: D9BE0840 00001C10
	v_mov_b32_e32 v28, v94                                     // 00000000DD48: 7E38035E
	v_mov_b32_e32 v29, v95                                     // 00000000DD4C: 7E3A035F
	v_mov_b32_e32 v30, v96                                     // 00000000DD50: 7E3C0360
	v_mov_b32_e32 v31, v97                                     // 00000000DD54: 7E3E0361
	ds_write_b128 v16, v[28:31] offset:3168                    // 00000000DD58: D9BE0C60 00001C10
	v_mov_b32_e32 v28, v98                                     // 00000000DD60: 7E380362
	v_mov_b32_e32 v29, v99                                     // 00000000DD64: 7E3A0363
	v_mov_b32_e32 v30, v100                                    // 00000000DD68: 7E3C0364
	v_mov_b32_e32 v31, v101                                    // 00000000DD6C: 7E3E0365
	ds_write_b128 v16, v[28:31] offset:4224                    // 00000000DD70: D9BE1080 00001C10
	v_mov_b32_e32 v28, v102                                    // 00000000DD78: 7E380366
	v_mov_b32_e32 v29, v103                                    // 00000000DD7C: 7E3A0367
	v_mov_b32_e32 v30, v104                                    // 00000000DD80: 7E3C0368
	v_mov_b32_e32 v31, v105                                    // 00000000DD84: 7E3E0369
	ds_write_b128 v16, v[28:31] offset:5280                    // 00000000DD88: D9BE14A0 00001C10
	v_mov_b32_e32 v28, v106                                    // 00000000DD90: 7E38036A
	v_mov_b32_e32 v29, v107                                    // 00000000DD94: 7E3A036B
	v_mov_b32_e32 v30, v108                                    // 00000000DD98: 7E3C036C
	v_mov_b32_e32 v31, v109                                    // 00000000DD9C: 7E3E036D
	ds_write_b128 v16, v[28:31] offset:6336                    // 00000000DDA0: D9BE18C0 00001C10
	v_mov_b32_e32 v28, v110                                    // 00000000DDA8: 7E38036E
	v_mov_b32_e32 v29, v111                                    // 00000000DDAC: 7E3A036F
	v_mov_b32_e32 v30, v112                                    // 00000000DDB0: 7E3C0370
	v_mov_b32_e32 v31, v113                                    // 00000000DDB4: 7E3E0371
	ds_write_b128 v16, v[28:31] offset:7392                    // 00000000DDB8: D9BE1CE0 00001C10
	s_waitcnt lgkmcnt(4)                                       // 00000000DDC0: BF8CC47F
	ds_read_b128 v[50:53], v3                                  // 00000000DDC4: D9FE0000 32000003
	ds_read_b128 v[54:57], v3 offset:32                        // 00000000DDCC: D9FE0020 36000003
	ds_read_b128 v[58:61], v3 offset:64                        // 00000000DDD4: D9FE0040 3A000003
	ds_read_b128 v[62:65], v3 offset:96                        // 00000000DDDC: D9FE0060 3E000003
	s_waitcnt lgkmcnt(4)                                       // 00000000DDE4: BF8CC47F
	ds_read_b128 v[66:69], v3 offset:128                       // 00000000DDE8: D9FE0080 42000003
	ds_read_b128 v[70:73], v3 offset:160                       // 00000000DDF0: D9FE00A0 46000003
	ds_read_b128 v[74:77], v3 offset:192                       // 00000000DDF8: D9FE00C0 4A000003
	ds_read_b128 v[78:81], v3 offset:224                       // 00000000DE00: D9FE00E0 4E000003
	s_waitcnt lgkmcnt(0)                                       // 00000000DE08: BF8CC07F
	v_mov_b32_e32 v5, v2                                       // 00000000DE0C: 7E0A0302
	buffer_store_dwordx4 v[50:53], v5, s[8:11], 0 offen offset:512// 00000000DE10: E07C1200 80023205
	v_add_u32_e32 v5, 0x1000, v5                               // 00000000DE18: 680A0AFF 00001000
	buffer_store_dwordx4 v[54:57], v5, s[8:11], 0 offen offset:512// 00000000DE20: E07C1200 80023605
	v_add_u32_e32 v5, 0x1000, v5                               // 00000000DE28: 680A0AFF 00001000
	buffer_store_dwordx4 v[58:61], v5, s[8:11], 0 offen offset:512// 00000000DE30: E07C1200 80023A05
	v_add_u32_e32 v5, 0x1000, v5                               // 00000000DE38: 680A0AFF 00001000
	buffer_store_dwordx4 v[62:65], v5, s[8:11], 0 offen offset:512// 00000000DE40: E07C1200 80023E05
	v_add_u32_e32 v5, 0x1000, v5                               // 00000000DE48: 680A0AFF 00001000
	buffer_store_dwordx4 v[66:69], v5, s[8:11], 0 offen offset:512// 00000000DE50: E07C1200 80024205
	v_add_u32_e32 v5, 0x1000, v5                               // 00000000DE58: 680A0AFF 00001000
	buffer_store_dwordx4 v[70:73], v5, s[8:11], 0 offen offset:512// 00000000DE60: E07C1200 80024605
	v_add_u32_e32 v5, 0x1000, v5                               // 00000000DE68: 680A0AFF 00001000
	buffer_store_dwordx4 v[74:77], v5, s[8:11], 0 offen offset:512// 00000000DE70: E07C1200 80024A05
	v_add_u32_e32 v5, 0x1000, v5                               // 00000000DE78: 680A0AFF 00001000
	buffer_store_dwordx4 v[78:81], v5, s[8:11], 0 offen offset:512// 00000000DE80: E07C1200 80024E05
	v_add_u32_e32 v5, 0x1000, v5                               // 00000000DE88: 680A0AFF 00001000
	v_mov_b32_e32 v28, v114                                    // 00000000DE90: 7E380372
	v_mov_b32_e32 v29, v115                                    // 00000000DE94: 7E3A0373
	v_mov_b32_e32 v30, v116                                    // 00000000DE98: 7E3C0374
	v_mov_b32_e32 v31, v117                                    // 00000000DE9C: 7E3E0375
	ds_write_b128 v16, v[28:31]                                // 00000000DEA0: D9BE0000 00001C10
	v_mov_b32_e32 v28, v118                                    // 00000000DEA8: 7E380376
	v_mov_b32_e32 v29, v119                                    // 00000000DEAC: 7E3A0377
	v_mov_b32_e32 v30, v120                                    // 00000000DEB0: 7E3C0378
	v_mov_b32_e32 v31, v121                                    // 00000000DEB4: 7E3E0379
	ds_write_b128 v16, v[28:31] offset:1056                    // 00000000DEB8: D9BE0420 00001C10
	v_mov_b32_e32 v28, v122                                    // 00000000DEC0: 7E38037A
	v_mov_b32_e32 v29, v123                                    // 00000000DEC4: 7E3A037B
	v_mov_b32_e32 v30, v124                                    // 00000000DEC8: 7E3C037C
	v_mov_b32_e32 v31, v125                                    // 00000000DECC: 7E3E037D
	ds_write_b128 v16, v[28:31] offset:2112                    // 00000000DED0: D9BE0840 00001C10
	v_mov_b32_e32 v28, v126                                    // 00000000DED8: 7E38037E
	v_mov_b32_e32 v29, v127                                    // 00000000DEDC: 7E3A037F
	v_mov_b32_e32 v30, v128                                    // 00000000DEE0: 7E3C0380
	v_mov_b32_e32 v31, v129                                    // 00000000DEE4: 7E3E0381
	ds_write_b128 v16, v[28:31] offset:3168                    // 00000000DEE8: D9BE0C60 00001C10
	v_mov_b32_e32 v28, v130                                    // 00000000DEF0: 7E380382
	v_mov_b32_e32 v29, v131                                    // 00000000DEF4: 7E3A0383
	v_mov_b32_e32 v30, v132                                    // 00000000DEF8: 7E3C0384
	v_mov_b32_e32 v31, v133                                    // 00000000DEFC: 7E3E0385
	ds_write_b128 v16, v[28:31] offset:4224                    // 00000000DF00: D9BE1080 00001C10
	v_mov_b32_e32 v28, v134                                    // 00000000DF08: 7E380386
	v_mov_b32_e32 v29, v135                                    // 00000000DF0C: 7E3A0387
	v_mov_b32_e32 v30, v136                                    // 00000000DF10: 7E3C0388
	v_mov_b32_e32 v31, v137                                    // 00000000DF14: 7E3E0389
	ds_write_b128 v16, v[28:31] offset:5280                    // 00000000DF18: D9BE14A0 00001C10
	v_mov_b32_e32 v28, v138                                    // 00000000DF20: 7E38038A
	v_mov_b32_e32 v29, v139                                    // 00000000DF24: 7E3A038B
	v_mov_b32_e32 v30, v140                                    // 00000000DF28: 7E3C038C
	v_mov_b32_e32 v31, v141                                    // 00000000DF2C: 7E3E038D
	ds_write_b128 v16, v[28:31] offset:6336                    // 00000000DF30: D9BE18C0 00001C10
	v_mov_b32_e32 v28, v142                                    // 00000000DF38: 7E38038E
	v_mov_b32_e32 v29, v143                                    // 00000000DF3C: 7E3A038F
	v_mov_b32_e32 v30, v144                                    // 00000000DF40: 7E3C0390
	v_mov_b32_e32 v31, v145                                    // 00000000DF44: 7E3E0391
	ds_write_b128 v16, v[28:31] offset:7392                    // 00000000DF48: D9BE1CE0 00001C10
	s_waitcnt lgkmcnt(4)                                       // 00000000DF50: BF8CC47F
	ds_read_b128 v[50:53], v3                                  // 00000000DF54: D9FE0000 32000003
	ds_read_b128 v[54:57], v3 offset:32                        // 00000000DF5C: D9FE0020 36000003
	ds_read_b128 v[58:61], v3 offset:64                        // 00000000DF64: D9FE0040 3A000003
	ds_read_b128 v[62:65], v3 offset:96                        // 00000000DF6C: D9FE0060 3E000003
	s_waitcnt lgkmcnt(4)                                       // 00000000DF74: BF8CC47F
	ds_read_b128 v[66:69], v3 offset:128                       // 00000000DF78: D9FE0080 42000003
	ds_read_b128 v[70:73], v3 offset:160                       // 00000000DF80: D9FE00A0 46000003
	ds_read_b128 v[74:77], v3 offset:192                       // 00000000DF88: D9FE00C0 4A000003
	ds_read_b128 v[78:81], v3 offset:224                       // 00000000DF90: D9FE00E0 4E000003
	s_waitcnt lgkmcnt(0)                                       // 00000000DF98: BF8CC07F
	v_mov_b32_e32 v5, v2                                       // 00000000DF9C: 7E0A0302
	buffer_store_dwordx4 v[50:53], v5, s[8:11], 0 offen offset:1024// 00000000DFA0: E07C1400 80023205
	v_add_u32_e32 v5, 0x1000, v5                               // 00000000DFA8: 680A0AFF 00001000
	buffer_store_dwordx4 v[54:57], v5, s[8:11], 0 offen offset:1024// 00000000DFB0: E07C1400 80023605
	v_add_u32_e32 v5, 0x1000, v5                               // 00000000DFB8: 680A0AFF 00001000
	buffer_store_dwordx4 v[58:61], v5, s[8:11], 0 offen offset:1024// 00000000DFC0: E07C1400 80023A05
	v_add_u32_e32 v5, 0x1000, v5                               // 00000000DFC8: 680A0AFF 00001000
	buffer_store_dwordx4 v[62:65], v5, s[8:11], 0 offen offset:1024// 00000000DFD0: E07C1400 80023E05
	v_add_u32_e32 v5, 0x1000, v5                               // 00000000DFD8: 680A0AFF 00001000
	buffer_store_dwordx4 v[66:69], v5, s[8:11], 0 offen offset:1024// 00000000DFE0: E07C1400 80024205
	v_add_u32_e32 v5, 0x1000, v5                               // 00000000DFE8: 680A0AFF 00001000
	buffer_store_dwordx4 v[70:73], v5, s[8:11], 0 offen offset:1024// 00000000DFF0: E07C1400 80024605
	v_add_u32_e32 v5, 0x1000, v5                               // 00000000DFF8: 680A0AFF 00001000
	buffer_store_dwordx4 v[74:77], v5, s[8:11], 0 offen offset:1024// 00000000E000: E07C1400 80024A05
	v_add_u32_e32 v5, 0x1000, v5                               // 00000000E008: 680A0AFF 00001000
	buffer_store_dwordx4 v[78:81], v5, s[8:11], 0 offen offset:1024// 00000000E010: E07C1400 80024E05
	v_add_u32_e32 v5, 0x1000, v5                               // 00000000E018: 680A0AFF 00001000
	v_mov_b32_e32 v28, v146                                    // 00000000E020: 7E380392
	v_mov_b32_e32 v29, v147                                    // 00000000E024: 7E3A0393
	v_mov_b32_e32 v30, v148                                    // 00000000E028: 7E3C0394
	v_mov_b32_e32 v31, v149                                    // 00000000E02C: 7E3E0395
	ds_write_b128 v16, v[28:31]                                // 00000000E030: D9BE0000 00001C10
	v_mov_b32_e32 v28, v150                                    // 00000000E038: 7E380396
	v_mov_b32_e32 v29, v151                                    // 00000000E03C: 7E3A0397
	v_mov_b32_e32 v30, v152                                    // 00000000E040: 7E3C0398
	v_mov_b32_e32 v31, v153                                    // 00000000E044: 7E3E0399
	ds_write_b128 v16, v[28:31] offset:1056                    // 00000000E048: D9BE0420 00001C10
	v_mov_b32_e32 v28, v154                                    // 00000000E050: 7E38039A
	v_mov_b32_e32 v29, v155                                    // 00000000E054: 7E3A039B
	v_mov_b32_e32 v30, v156                                    // 00000000E058: 7E3C039C
	v_mov_b32_e32 v31, v157                                    // 00000000E05C: 7E3E039D
	ds_write_b128 v16, v[28:31] offset:2112                    // 00000000E060: D9BE0840 00001C10
	v_mov_b32_e32 v28, v158                                    // 00000000E068: 7E38039E
	v_mov_b32_e32 v29, v159                                    // 00000000E06C: 7E3A039F
	v_mov_b32_e32 v30, v160                                    // 00000000E070: 7E3C03A0
	v_mov_b32_e32 v31, v161                                    // 00000000E074: 7E3E03A1
	ds_write_b128 v16, v[28:31] offset:3168                    // 00000000E078: D9BE0C60 00001C10
	v_mov_b32_e32 v28, v162                                    // 00000000E080: 7E3803A2
	v_mov_b32_e32 v29, v163                                    // 00000000E084: 7E3A03A3
	v_mov_b32_e32 v30, v164                                    // 00000000E088: 7E3C03A4
	v_mov_b32_e32 v31, v165                                    // 00000000E08C: 7E3E03A5
	ds_write_b128 v16, v[28:31] offset:4224                    // 00000000E090: D9BE1080 00001C10
	v_mov_b32_e32 v28, v166                                    // 00000000E098: 7E3803A6
	v_mov_b32_e32 v29, v167                                    // 00000000E09C: 7E3A03A7
	v_mov_b32_e32 v30, v168                                    // 00000000E0A0: 7E3C03A8
	v_mov_b32_e32 v31, v169                                    // 00000000E0A4: 7E3E03A9
	ds_write_b128 v16, v[28:31] offset:5280                    // 00000000E0A8: D9BE14A0 00001C10
	v_mov_b32_e32 v28, v170                                    // 00000000E0B0: 7E3803AA
	v_mov_b32_e32 v29, v171                                    // 00000000E0B4: 7E3A03AB
	v_mov_b32_e32 v30, v172                                    // 00000000E0B8: 7E3C03AC
	v_mov_b32_e32 v31, v173                                    // 00000000E0BC: 7E3E03AD
	ds_write_b128 v16, v[28:31] offset:6336                    // 00000000E0C0: D9BE18C0 00001C10
	v_mov_b32_e32 v28, v174                                    // 00000000E0C8: 7E3803AE
	v_mov_b32_e32 v29, v175                                    // 00000000E0CC: 7E3A03AF
	v_mov_b32_e32 v30, v176                                    // 00000000E0D0: 7E3C03B0
	v_mov_b32_e32 v31, v177                                    // 00000000E0D4: 7E3E03B1
	ds_write_b128 v16, v[28:31] offset:7392                    // 00000000E0D8: D9BE1CE0 00001C10
	s_waitcnt lgkmcnt(4)                                       // 00000000E0E0: BF8CC47F
	ds_read_b128 v[50:53], v3                                  // 00000000E0E4: D9FE0000 32000003
	ds_read_b128 v[54:57], v3 offset:32                        // 00000000E0EC: D9FE0020 36000003
	ds_read_b128 v[58:61], v3 offset:64                        // 00000000E0F4: D9FE0040 3A000003
	ds_read_b128 v[62:65], v3 offset:96                        // 00000000E0FC: D9FE0060 3E000003
	s_waitcnt lgkmcnt(4)                                       // 00000000E104: BF8CC47F
	ds_read_b128 v[66:69], v3 offset:128                       // 00000000E108: D9FE0080 42000003
	ds_read_b128 v[70:73], v3 offset:160                       // 00000000E110: D9FE00A0 46000003
	ds_read_b128 v[74:77], v3 offset:192                       // 00000000E118: D9FE00C0 4A000003
	ds_read_b128 v[78:81], v3 offset:224                       // 00000000E120: D9FE00E0 4E000003
	s_waitcnt lgkmcnt(0)                                       // 00000000E128: BF8CC07F
	v_mov_b32_e32 v5, v2                                       // 00000000E12C: 7E0A0302
	buffer_store_dwordx4 v[50:53], v5, s[8:11], 0 offen offset:1536// 00000000E130: E07C1600 80023205
	v_add_u32_e32 v5, 0x1000, v5                               // 00000000E138: 680A0AFF 00001000
	buffer_store_dwordx4 v[54:57], v5, s[8:11], 0 offen offset:1536// 00000000E140: E07C1600 80023605
	v_add_u32_e32 v5, 0x1000, v5                               // 00000000E148: 680A0AFF 00001000
	buffer_store_dwordx4 v[58:61], v5, s[8:11], 0 offen offset:1536// 00000000E150: E07C1600 80023A05
	v_add_u32_e32 v5, 0x1000, v5                               // 00000000E158: 680A0AFF 00001000
	buffer_store_dwordx4 v[62:65], v5, s[8:11], 0 offen offset:1536// 00000000E160: E07C1600 80023E05
	v_add_u32_e32 v5, 0x1000, v5                               // 00000000E168: 680A0AFF 00001000
	buffer_store_dwordx4 v[66:69], v5, s[8:11], 0 offen offset:1536// 00000000E170: E07C1600 80024205
	v_add_u32_e32 v5, 0x1000, v5                               // 00000000E178: 680A0AFF 00001000
	buffer_store_dwordx4 v[70:73], v5, s[8:11], 0 offen offset:1536// 00000000E180: E07C1600 80024605
	v_add_u32_e32 v5, 0x1000, v5                               // 00000000E188: 680A0AFF 00001000
	buffer_store_dwordx4 v[74:77], v5, s[8:11], 0 offen offset:1536// 00000000E190: E07C1600 80024A05
	v_add_u32_e32 v5, 0x1000, v5                               // 00000000E198: 680A0AFF 00001000
	buffer_store_dwordx4 v[78:81], v5, s[8:11], 0 offen offset:1536// 00000000E1A0: E07C1600 80024E05
	v_add_u32_e32 v5, 0x1000, v5                               // 00000000E1A8: 680A0AFF 00001000
	buffer_store_dword v1, v4, s[12:15], 0 offen               // 00000000E1B0: E0701000 80030104
	s_branch label_C774                                        // 00000000E1B8: BF8201AC

000000000000e1bc <label_C0C4>:
	s_mul_i32 s75, 0x400, s92                                  // 00000000E1BC: 924B5CFF 00000400
	s_mul_i32 s56, s75, s79                                    // 00000000E1C4: 92384F4B
	s_add_u32 s88, s56, s88                                    // 00000000E1C8: 80585838
	s_addc_u32 s89, 0, s89                                     // 00000000E1CC: 82595980
	s_mul_i32 s56, s75, s81                                    // 00000000E1D0: 9238514B
	s_mov_b32 s90, s56                                         // 00000000E1D4: BEDA0038
	v_lshlrev_b32_e32 v2, 3, v0                                // 00000000E1D8: 24040083
	s_mov_b32 s56, 0x5000                                      // 00000000E1DC: BEB800FF 00005000
	s_mul_i32 s56, s7, s56                                     // 00000000E1E4: 92383807
	v_add_u32_e32 v2, s56, v2                                  // 00000000E1E8: 68040438
	v_cvt_pk_bf16_f32 v50, v50, v51                            // 00000000E1EC: D2680032 00026732
	v_cvt_pk_bf16_f32 v51, v52, v53                            // 00000000E1F4: D2680033 00026B34
	v_cvt_pk_bf16_f32 v52, v54, v55                            // 00000000E1FC: D2680034 00026F36
	v_cvt_pk_bf16_f32 v53, v56, v57                            // 00000000E204: D2680035 00027338
	v_cvt_pk_bf16_f32 v54, v58, v59                            // 00000000E20C: D2680036 0002773A
	v_cvt_pk_bf16_f32 v55, v60, v61                            // 00000000E214: D2680037 00027B3C
	v_cvt_pk_bf16_f32 v56, v62, v63                            // 00000000E21C: D2680038 00027F3E
	v_cvt_pk_bf16_f32 v57, v64, v65                            // 00000000E224: D2680039 00028340
	v_cvt_pk_bf16_f32 v58, v66, v67                            // 00000000E22C: D268003A 00028742
	v_cvt_pk_bf16_f32 v59, v68, v69                            // 00000000E234: D268003B 00028B44
	v_cvt_pk_bf16_f32 v60, v70, v71                            // 00000000E23C: D268003C 00028F46
	v_cvt_pk_bf16_f32 v61, v72, v73                            // 00000000E244: D268003D 00029348
	v_cvt_pk_bf16_f32 v62, v74, v75                            // 00000000E24C: D268003E 0002974A
	v_cvt_pk_bf16_f32 v63, v76, v77                            // 00000000E254: D268003F 00029B4C
	v_cvt_pk_bf16_f32 v64, v78, v79                            // 00000000E25C: D2680040 00029F4E
	v_cvt_pk_bf16_f32 v65, v80, v81                            // 00000000E264: D2680041 0002A350
	ds_write_b64 v2, v[50:51]                                  // 00000000E26C: D89A0000 00003202
	v_add_u32_e32 v2, 0x208, v2                                // 00000000E274: 680404FF 00000208
	ds_write_b64 v2, v[52:53]                                  // 00000000E27C: D89A0000 00003402
	v_add_u32_e32 v2, 0x208, v2                                // 00000000E284: 680404FF 00000208
	ds_write_b64 v2, v[54:55]                                  // 00000000E28C: D89A0000 00003602
	v_add_u32_e32 v2, 0x208, v2                                // 00000000E294: 680404FF 00000208
	ds_write_b64 v2, v[56:57]                                  // 00000000E29C: D89A0000 00003802
	v_add_u32_e32 v2, 0x208, v2                                // 00000000E2A4: 680404FF 00000208
	ds_write_b64 v2, v[58:59]                                  // 00000000E2AC: D89A0000 00003A02
	v_add_u32_e32 v2, 0x208, v2                                // 00000000E2B4: 680404FF 00000208
	ds_write_b64 v2, v[60:61]                                  // 00000000E2BC: D89A0000 00003C02
	v_add_u32_e32 v2, 0x208, v2                                // 00000000E2C4: 680404FF 00000208
	ds_write_b64 v2, v[62:63]                                  // 00000000E2CC: D89A0000 00003E02
	v_add_u32_e32 v2, 0x208, v2                                // 00000000E2D4: 680404FF 00000208
	ds_write_b64 v2, v[64:65]                                  // 00000000E2DC: D89A0000 00004002
	v_add_u32_e32 v2, 0x208, v2                                // 00000000E2E4: 680404FF 00000208
	v_cvt_pk_bf16_f32 v50, v82, v83                            // 00000000E2EC: D2680032 0002A752
	v_cvt_pk_bf16_f32 v51, v84, v85                            // 00000000E2F4: D2680033 0002AB54
	v_cvt_pk_bf16_f32 v52, v86, v87                            // 00000000E2FC: D2680034 0002AF56
	v_cvt_pk_bf16_f32 v53, v88, v89                            // 00000000E304: D2680035 0002B358
	v_cvt_pk_bf16_f32 v54, v90, v91                            // 00000000E30C: D2680036 0002B75A
	v_cvt_pk_bf16_f32 v55, v92, v93                            // 00000000E314: D2680037 0002BB5C
	v_cvt_pk_bf16_f32 v56, v94, v95                            // 00000000E31C: D2680038 0002BF5E
	v_cvt_pk_bf16_f32 v57, v96, v97                            // 00000000E324: D2680039 0002C360
	v_cvt_pk_bf16_f32 v58, v98, v99                            // 00000000E32C: D268003A 0002C762
	v_cvt_pk_bf16_f32 v59, v100, v101                          // 00000000E334: D268003B 0002CB64
	v_cvt_pk_bf16_f32 v60, v102, v103                          // 00000000E33C: D268003C 0002CF66
	v_cvt_pk_bf16_f32 v61, v104, v105                          // 00000000E344: D268003D 0002D368
	v_cvt_pk_bf16_f32 v62, v106, v107                          // 00000000E34C: D268003E 0002D76A
	v_cvt_pk_bf16_f32 v63, v108, v109                          // 00000000E354: D268003F 0002DB6C
	v_cvt_pk_bf16_f32 v64, v110, v111                          // 00000000E35C: D2680040 0002DF6E
	v_cvt_pk_bf16_f32 v65, v112, v113                          // 00000000E364: D2680041 0002E370
	ds_write_b64 v2, v[50:51]                                  // 00000000E36C: D89A0000 00003202
	v_add_u32_e32 v2, 0x208, v2                                // 00000000E374: 680404FF 00000208
	ds_write_b64 v2, v[52:53]                                  // 00000000E37C: D89A0000 00003402
	v_add_u32_e32 v2, 0x208, v2                                // 00000000E384: 680404FF 00000208
	ds_write_b64 v2, v[54:55]                                  // 00000000E38C: D89A0000 00003602
	v_add_u32_e32 v2, 0x208, v2                                // 00000000E394: 680404FF 00000208
	ds_write_b64 v2, v[56:57]                                  // 00000000E39C: D89A0000 00003802
	v_add_u32_e32 v2, 0x208, v2                                // 00000000E3A4: 680404FF 00000208
	ds_write_b64 v2, v[58:59]                                  // 00000000E3AC: D89A0000 00003A02
	v_add_u32_e32 v2, 0x208, v2                                // 00000000E3B4: 680404FF 00000208
	ds_write_b64 v2, v[60:61]                                  // 00000000E3BC: D89A0000 00003C02
	v_add_u32_e32 v2, 0x208, v2                                // 00000000E3C4: 680404FF 00000208
	ds_write_b64 v2, v[62:63]                                  // 00000000E3CC: D89A0000 00003E02
	v_add_u32_e32 v2, 0x208, v2                                // 00000000E3D4: 680404FF 00000208
	ds_write_b64 v2, v[64:65]                                  // 00000000E3DC: D89A0000 00004002
	v_add_u32_e32 v2, 0x208, v2                                // 00000000E3E4: 680404FF 00000208
	v_cvt_pk_bf16_f32 v50, v114, v115                          // 00000000E3EC: D2680032 0002E772
	v_cvt_pk_bf16_f32 v51, v116, v117                          // 00000000E3F4: D2680033 0002EB74
	v_cvt_pk_bf16_f32 v52, v118, v119                          // 00000000E3FC: D2680034 0002EF76
	v_cvt_pk_bf16_f32 v53, v120, v121                          // 00000000E404: D2680035 0002F378
	v_cvt_pk_bf16_f32 v54, v122, v123                          // 00000000E40C: D2680036 0002F77A
	v_cvt_pk_bf16_f32 v55, v124, v125                          // 00000000E414: D2680037 0002FB7C
	v_cvt_pk_bf16_f32 v56, v126, v127                          // 00000000E41C: D2680038 0002FF7E
	v_cvt_pk_bf16_f32 v57, v128, v129                          // 00000000E424: D2680039 00030380
	v_cvt_pk_bf16_f32 v58, v130, v131                          // 00000000E42C: D268003A 00030782
	v_cvt_pk_bf16_f32 v59, v132, v133                          // 00000000E434: D268003B 00030B84
	v_cvt_pk_bf16_f32 v60, v134, v135                          // 00000000E43C: D268003C 00030F86
	v_cvt_pk_bf16_f32 v61, v136, v137                          // 00000000E444: D268003D 00031388
	v_cvt_pk_bf16_f32 v62, v138, v139                          // 00000000E44C: D268003E 0003178A
	v_cvt_pk_bf16_f32 v63, v140, v141                          // 00000000E454: D268003F 00031B8C
	v_cvt_pk_bf16_f32 v64, v142, v143                          // 00000000E45C: D2680040 00031F8E
	v_cvt_pk_bf16_f32 v65, v144, v145                          // 00000000E464: D2680041 00032390
	ds_write_b64 v2, v[50:51]                                  // 00000000E46C: D89A0000 00003202
	v_add_u32_e32 v2, 0x208, v2                                // 00000000E474: 680404FF 00000208
	ds_write_b64 v2, v[52:53]                                  // 00000000E47C: D89A0000 00003402
	v_add_u32_e32 v2, 0x208, v2                                // 00000000E484: 680404FF 00000208
	ds_write_b64 v2, v[54:55]                                  // 00000000E48C: D89A0000 00003602
	v_add_u32_e32 v2, 0x208, v2                                // 00000000E494: 680404FF 00000208
	ds_write_b64 v2, v[56:57]                                  // 00000000E49C: D89A0000 00003802
	v_add_u32_e32 v2, 0x208, v2                                // 00000000E4A4: 680404FF 00000208
	ds_write_b64 v2, v[58:59]                                  // 00000000E4AC: D89A0000 00003A02
	v_add_u32_e32 v2, 0x208, v2                                // 00000000E4B4: 680404FF 00000208
	ds_write_b64 v2, v[60:61]                                  // 00000000E4BC: D89A0000 00003C02
	v_add_u32_e32 v2, 0x208, v2                                // 00000000E4C4: 680404FF 00000208
	ds_write_b64 v2, v[62:63]                                  // 00000000E4CC: D89A0000 00003E02
	v_add_u32_e32 v2, 0x208, v2                                // 00000000E4D4: 680404FF 00000208
	ds_write_b64 v2, v[64:65]                                  // 00000000E4DC: D89A0000 00004002
	v_add_u32_e32 v2, 0x208, v2                                // 00000000E4E4: 680404FF 00000208
	v_cvt_pk_bf16_f32 v50, v146, v147                          // 00000000E4EC: D2680032 00032792
	v_cvt_pk_bf16_f32 v51, v148, v149                          // 00000000E4F4: D2680033 00032B94
	v_cvt_pk_bf16_f32 v52, v150, v151                          // 00000000E4FC: D2680034 00032F96
	v_cvt_pk_bf16_f32 v53, v152, v153                          // 00000000E504: D2680035 00033398
	v_cvt_pk_bf16_f32 v54, v154, v155                          // 00000000E50C: D2680036 0003379A
	v_cvt_pk_bf16_f32 v55, v156, v157                          // 00000000E514: D2680037 00033B9C
	v_cvt_pk_bf16_f32 v56, v158, v159                          // 00000000E51C: D2680038 00033F9E
	v_cvt_pk_bf16_f32 v57, v160, v161                          // 00000000E524: D2680039 000343A0
	v_cvt_pk_bf16_f32 v58, v162, v163                          // 00000000E52C: D268003A 000347A2
	v_cvt_pk_bf16_f32 v59, v164, v165                          // 00000000E534: D268003B 00034BA4
	v_cvt_pk_bf16_f32 v60, v166, v167                          // 00000000E53C: D268003C 00034FA6
	v_cvt_pk_bf16_f32 v61, v168, v169                          // 00000000E544: D268003D 000353A8
	v_cvt_pk_bf16_f32 v62, v170, v171                          // 00000000E54C: D268003E 000357AA
	v_cvt_pk_bf16_f32 v63, v172, v173                          // 00000000E554: D268003F 00035BAC
	v_cvt_pk_bf16_f32 v64, v174, v175                          // 00000000E55C: D2680040 00035FAE
	v_cvt_pk_bf16_f32 v65, v176, v177                          // 00000000E564: D2680041 000363B0
	ds_write_b64 v2, v[50:51]                                  // 00000000E56C: D89A0000 00003202
	v_add_u32_e32 v2, 0x208, v2                                // 00000000E574: 680404FF 00000208
	ds_write_b64 v2, v[52:53]                                  // 00000000E57C: D89A0000 00003402
	v_add_u32_e32 v2, 0x208, v2                                // 00000000E584: 680404FF 00000208
	ds_write_b64 v2, v[54:55]                                  // 00000000E58C: D89A0000 00003602
	v_add_u32_e32 v2, 0x208, v2                                // 00000000E594: 680404FF 00000208
	ds_write_b64 v2, v[56:57]                                  // 00000000E59C: D89A0000 00003802
	v_add_u32_e32 v2, 0x208, v2                                // 00000000E5A4: 680404FF 00000208
	ds_write_b64 v2, v[58:59]                                  // 00000000E5AC: D89A0000 00003A02
	v_add_u32_e32 v2, 0x208, v2                                // 00000000E5B4: 680404FF 00000208
	ds_write_b64 v2, v[60:61]                                  // 00000000E5BC: D89A0000 00003C02
	v_add_u32_e32 v2, 0x208, v2                                // 00000000E5C4: 680404FF 00000208
	ds_write_b64 v2, v[62:63]                                  // 00000000E5CC: D89A0000 00003E02
	v_add_u32_e32 v2, 0x208, v2                                // 00000000E5D4: 680404FF 00000208
	ds_write_b64 v2, v[64:65]                                  // 00000000E5DC: D89A0000 00004002
	v_add_u32_e32 v2, 0x208, v2                                // 00000000E5E4: 680404FF 00000208
	v_mul_i32_i24_e32 v2, 0x100, v0                            // 00000000E5EC: 0C0400FF 00000100
	v_lshrrev_b32_e32 v28, 1, v0                               // 00000000E5F4: 20380081
	v_lshlrev_b32_e32 v28, 3, v28                              // 00000000E5F8: 24383883
	v_add_u32_e32 v2, v2, v28                                  // 00000000E5FC: 68043902
	v_add_u32_e32 v3, 0x80, v2                                 // 00000000E600: 680604FF 00000080
	s_mul_i32 s56, 0x5000, s7                                  // 00000000E608: 923807FF 00005000
	v_add_u32_e32 v2, s56, v2                                  // 00000000E610: 68040438
	v_add_u32_e32 v3, s56, v3                                  // 00000000E614: 68060638
	s_mul_i32 s56, 0x4000, s7                                  // 00000000E618: 923807FF 00004000
	v_lshlrev_b32_e32 v5, 4, v0                                // 00000000E620: 240A0084
	v_add_u32_e32 v5, s56, v5                                  // 00000000E624: 680A0A38
	s_waitcnt lgkmcnt(0)                                       // 00000000E628: BF8CC07F
	ds_read_b64 v[50:51], v2                                   // 00000000E62C: D8EC0000 32000002
	ds_read_b64 v[52:53], v3                                   // 00000000E634: D8EC0000 34000003
	ds_read_b64 v[54:55], v2 offset:8                          // 00000000E63C: D8EC0008 36000002
	ds_read_b64 v[56:57], v3 offset:8                          // 00000000E644: D8EC0008 38000003
	s_waitcnt lgkmcnt(2)                                       // 00000000E64C: BF8CC27F
	buffer_store_dwordx4 v[50:53], v5, s[88:91], 0 offen       // 00000000E650: E07C1000 80163205
	v_add_u32_e32 v5, 0x400, v5                                // 00000000E658: 680A0AFF 00000400
	ds_read_b64 v[58:59], v2 offset:16                         // 00000000E660: D8EC0010 3A000002
	ds_read_b64 v[60:61], v3 offset:16                         // 00000000E668: D8EC0010 3C000003
	s_waitcnt lgkmcnt(2)                                       // 00000000E670: BF8CC27F
	buffer_store_dwordx4 v[54:57], v5, s[88:91], 0 offen       // 00000000E674: E07C1000 80163605
	v_add_u32_e32 v5, 0x400, v5                                // 00000000E67C: 680A0AFF 00000400
	ds_read_b64 v[62:63], v2 offset:24                         // 00000000E684: D8EC0018 3E000002
	ds_read_b64 v[64:65], v3 offset:24                         // 00000000E68C: D8EC0018 40000003
	s_waitcnt lgkmcnt(2)                                       // 00000000E694: BF8CC27F
	buffer_store_dwordx4 v[58:61], v5, s[88:91], 0 offen       // 00000000E698: E07C1000 80163A05
	v_add_u32_e32 v5, 0x400, v5                                // 00000000E6A0: 680A0AFF 00000400
	s_waitcnt lgkmcnt(0)                                       // 00000000E6A8: BF8CC07F
	buffer_store_dwordx4 v[62:65], v5, s[88:91], 0 offen       // 00000000E6AC: E07C1000 80163E05
	v_add_u32_e32 v5, 0x400, v5                                // 00000000E6B4: 680A0AFF 00000400
	ds_read_b64 v[66:67], v2 offset:32                         // 00000000E6BC: D8EC0020 42000002
	ds_read_b64 v[68:69], v3 offset:32                         // 00000000E6C4: D8EC0020 44000003
	ds_read_b64 v[70:71], v2 offset:40                         // 00000000E6CC: D8EC0028 46000002
	ds_read_b64 v[72:73], v3 offset:40                         // 00000000E6D4: D8EC0028 48000003
	s_waitcnt lgkmcnt(2)                                       // 00000000E6DC: BF8CC27F
	buffer_store_dwordx4 v[66:69], v5, s[88:91], 0 offen       // 00000000E6E0: E07C1000 80164205
	v_add_u32_e32 v5, 0x400, v5                                // 00000000E6E8: 680A0AFF 00000400
	ds_read_b64 v[74:75], v2 offset:48                         // 00000000E6F0: D8EC0030 4A000002
	ds_read_b64 v[76:77], v3 offset:48                         // 00000000E6F8: D8EC0030 4C000003
	s_waitcnt lgkmcnt(2)                                       // 00000000E700: BF8CC27F
	buffer_store_dwordx4 v[70:73], v5, s[88:91], 0 offen       // 00000000E704: E07C1000 80164605
	v_add_u32_e32 v5, 0x400, v5                                // 00000000E70C: 680A0AFF 00000400
	ds_read_b64 v[78:79], v2 offset:56                         // 00000000E714: D8EC0038 4E000002
	ds_read_b64 v[80:81], v3 offset:56                         // 00000000E71C: D8EC0038 50000003
	s_waitcnt lgkmcnt(2)                                       // 00000000E724: BF8CC27F
	buffer_store_dwordx4 v[74:77], v5, s[88:91], 0 offen       // 00000000E728: E07C1000 80164A05
	v_add_u32_e32 v5, 0x400, v5                                // 00000000E730: 680A0AFF 00000400
	s_waitcnt lgkmcnt(0)                                       // 00000000E738: BF8CC07F
	buffer_store_dwordx4 v[78:81], v5, s[88:91], 0 offen       // 00000000E73C: E07C1000 80164E05
	v_add_u32_e32 v5, 0x400, v5                                // 00000000E744: 680A0AFF 00000400
	ds_read_b64 v[82:83], v2 offset:64                         // 00000000E74C: D8EC0040 52000002
	ds_read_b64 v[84:85], v3 offset:64                         // 00000000E754: D8EC0040 54000003
	ds_read_b64 v[86:87], v2 offset:72                         // 00000000E75C: D8EC0048 56000002
	ds_read_b64 v[88:89], v3 offset:72                         // 00000000E764: D8EC0048 58000003
	s_waitcnt lgkmcnt(2)                                       // 00000000E76C: BF8CC27F
	buffer_store_dwordx4 v[82:85], v5, s[88:91], 0 offen       // 00000000E770: E07C1000 80165205
	v_add_u32_e32 v5, 0x400, v5                                // 00000000E778: 680A0AFF 00000400
	ds_read_b64 v[90:91], v2 offset:80                         // 00000000E780: D8EC0050 5A000002
	ds_read_b64 v[92:93], v3 offset:80                         // 00000000E788: D8EC0050 5C000003
	s_waitcnt lgkmcnt(2)                                       // 00000000E790: BF8CC27F
	buffer_store_dwordx4 v[86:89], v5, s[88:91], 0 offen       // 00000000E794: E07C1000 80165605
	v_add_u32_e32 v5, 0x400, v5                                // 00000000E79C: 680A0AFF 00000400
	ds_read_b64 v[94:95], v2 offset:88                         // 00000000E7A4: D8EC0058 5E000002
	ds_read_b64 v[96:97], v3 offset:88                         // 00000000E7AC: D8EC0058 60000003
	s_waitcnt lgkmcnt(2)                                       // 00000000E7B4: BF8CC27F
	buffer_store_dwordx4 v[90:93], v5, s[88:91], 0 offen       // 00000000E7B8: E07C1000 80165A05
	v_add_u32_e32 v5, 0x400, v5                                // 00000000E7C0: 680A0AFF 00000400
	s_waitcnt lgkmcnt(0)                                       // 00000000E7C8: BF8CC07F
	buffer_store_dwordx4 v[94:97], v5, s[88:91], 0 offen       // 00000000E7CC: E07C1000 80165E05
	v_add_u32_e32 v5, 0x400, v5                                // 00000000E7D4: 680A0AFF 00000400
	ds_read_b64 v[98:99], v2 offset:96                         // 00000000E7DC: D8EC0060 62000002
	ds_read_b64 v[100:101], v3 offset:96                       // 00000000E7E4: D8EC0060 64000003
	ds_read_b64 v[102:103], v2 offset:104                      // 00000000E7EC: D8EC0068 66000002
	ds_read_b64 v[104:105], v3 offset:104                      // 00000000E7F4: D8EC0068 68000003
	s_waitcnt lgkmcnt(2)                                       // 00000000E7FC: BF8CC27F
	buffer_store_dwordx4 v[98:101], v5, s[88:91], 0 offen      // 00000000E800: E07C1000 80166205
	v_add_u32_e32 v5, 0x400, v5                                // 00000000E808: 680A0AFF 00000400
	ds_read_b64 v[106:107], v2 offset:112                      // 00000000E810: D8EC0070 6A000002
	ds_read_b64 v[108:109], v3 offset:112                      // 00000000E818: D8EC0070 6C000003
	s_waitcnt lgkmcnt(2)                                       // 00000000E820: BF8CC27F
	buffer_store_dwordx4 v[102:105], v5, s[88:91], 0 offen     // 00000000E824: E07C1000 80166605
	v_add_u32_e32 v5, 0x400, v5                                // 00000000E82C: 680A0AFF 00000400
	ds_read_b64 v[110:111], v2 offset:120                      // 00000000E834: D8EC0078 6E000002
	ds_read_b64 v[112:113], v3 offset:120                      // 00000000E83C: D8EC0078 70000003
	s_waitcnt lgkmcnt(2)                                       // 00000000E844: BF8CC27F
	buffer_store_dwordx4 v[106:109], v5, s[88:91], 0 offen     // 00000000E848: E07C1000 80166A05
	v_add_u32_e32 v5, 0x400, v5                                // 00000000E850: 680A0AFF 00000400
	s_waitcnt lgkmcnt(0)                                       // 00000000E858: BF8CC07F
	buffer_store_dwordx4 v[110:113], v5, s[88:91], 0 offen     // 00000000E85C: E07C1000 80166E05
	v_add_u32_e32 v5, 0x400, v5                                // 00000000E864: 680A0AFF 00000400

000000000000e86c <label_C774>:
	s_mov_b32 s56, 32                                          // 00000000E86C: BEB800A0
	s_addk_i32 s85, 0x1                                        // 00000000E870: B7550001
	s_cmp_lt_i32 s85, s86                                      // 00000000E874: BF045655
	s_cbranch_scc1 label_00A4                                  // 00000000E878: BF85CECA

000000000000e87c <label_C784>:
	s_waitcnt vmcnt(0) expcnt(0) lgkmcnt(0)                    // 00000000E87C: BF8C0000
	s_endpgm                                                   // 00000000E880: BF810000
